;; amdgpu-corpus repo=ROCm/composable_kernel kind=compiled arch=gfx906 opt=O3
	.amdgcn_target "amdgcn-amd-amdhsa--gfx906"
	.amdhsa_code_object_version 6
	.section	.text._ZN2ckL12flush_icacheEv,"axG",@progbits,_ZN2ckL12flush_icacheEv,comdat
	.globl	_ZN2ckL12flush_icacheEv         ; -- Begin function _ZN2ckL12flush_icacheEv
	.p2align	8
	.type	_ZN2ckL12flush_icacheEv,@function
_ZN2ckL12flush_icacheEv:                ; @_ZN2ckL12flush_icacheEv
; %bb.0:
	;;#ASMSTART
	s_icache_inv 
	s_nop 0 
	s_nop 0 
	;; [unrolled: 1-line block ×16, first 2 shown]
	
	;;#ASMEND
	s_endpgm
	.section	.rodata,"a",@progbits
	.p2align	6, 0x0
	.amdhsa_kernel _ZN2ckL12flush_icacheEv
		.amdhsa_group_segment_fixed_size 0
		.amdhsa_private_segment_fixed_size 0
		.amdhsa_kernarg_size 0
		.amdhsa_user_sgpr_count 4
		.amdhsa_user_sgpr_private_segment_buffer 1
		.amdhsa_user_sgpr_dispatch_ptr 0
		.amdhsa_user_sgpr_queue_ptr 0
		.amdhsa_user_sgpr_kernarg_segment_ptr 0
		.amdhsa_user_sgpr_dispatch_id 0
		.amdhsa_user_sgpr_flat_scratch_init 0
		.amdhsa_user_sgpr_private_segment_size 0
		.amdhsa_uses_dynamic_stack 0
		.amdhsa_system_sgpr_private_segment_wavefront_offset 0
		.amdhsa_system_sgpr_workgroup_id_x 1
		.amdhsa_system_sgpr_workgroup_id_y 0
		.amdhsa_system_sgpr_workgroup_id_z 0
		.amdhsa_system_sgpr_workgroup_info 0
		.amdhsa_system_vgpr_workitem_id 0
		.amdhsa_next_free_vgpr 1
		.amdhsa_next_free_sgpr 0
		.amdhsa_reserve_vcc 0
		.amdhsa_reserve_flat_scratch 0
		.amdhsa_float_round_mode_32 0
		.amdhsa_float_round_mode_16_64 0
		.amdhsa_float_denorm_mode_32 3
		.amdhsa_float_denorm_mode_16_64 3
		.amdhsa_dx10_clamp 1
		.amdhsa_ieee_mode 1
		.amdhsa_fp16_overflow 0
		.amdhsa_exception_fp_ieee_invalid_op 0
		.amdhsa_exception_fp_denorm_src 0
		.amdhsa_exception_fp_ieee_div_zero 0
		.amdhsa_exception_fp_ieee_overflow 0
		.amdhsa_exception_fp_ieee_underflow 0
		.amdhsa_exception_fp_ieee_inexact 0
		.amdhsa_exception_int_div_zero 0
	.end_amdhsa_kernel
	.section	.text._ZN2ckL12flush_icacheEv,"axG",@progbits,_ZN2ckL12flush_icacheEv,comdat
.Lfunc_end0:
	.size	_ZN2ckL12flush_icacheEv, .Lfunc_end0-_ZN2ckL12flush_icacheEv
                                        ; -- End function
	.set _ZN2ckL12flush_icacheEv.num_vgpr, 0
	.set _ZN2ckL12flush_icacheEv.num_agpr, 0
	.set _ZN2ckL12flush_icacheEv.numbered_sgpr, 0
	.set _ZN2ckL12flush_icacheEv.num_named_barrier, 0
	.set _ZN2ckL12flush_icacheEv.private_seg_size, 0
	.set _ZN2ckL12flush_icacheEv.uses_vcc, 0
	.set _ZN2ckL12flush_icacheEv.uses_flat_scratch, 0
	.set _ZN2ckL12flush_icacheEv.has_dyn_sized_stack, 0
	.set _ZN2ckL12flush_icacheEv.has_recursion, 0
	.set _ZN2ckL12flush_icacheEv.has_indirect_call, 0
	.section	.AMDGPU.csdata,"",@progbits
; Kernel info:
; codeLenInByte = 140
; TotalNumSgprs: 4
; NumVgprs: 0
; ScratchSize: 0
; MemoryBound: 0
; FloatMode: 240
; IeeeMode: 1
; LDSByteSize: 0 bytes/workgroup (compile time only)
; SGPRBlocks: 0
; VGPRBlocks: 0
; NumSGPRsForWavesPerEU: 4
; NumVGPRsForWavesPerEU: 1
; Occupancy: 10
; WaveLimiterHint : 0
; COMPUTE_PGM_RSRC2:SCRATCH_EN: 0
; COMPUTE_PGM_RSRC2:USER_SGPR: 4
; COMPUTE_PGM_RSRC2:TRAP_HANDLER: 0
; COMPUTE_PGM_RSRC2:TGID_X_EN: 1
; COMPUTE_PGM_RSRC2:TGID_Y_EN: 0
; COMPUTE_PGM_RSRC2:TGID_Z_EN: 0
; COMPUTE_PGM_RSRC2:TIDIG_COMP_CNT: 0
	.section	.text._ZN2ck32kernel_gemm_xdlops_skip_b_lds_v1INS_48GridwiseGemm_k0mk1_k0nk1_mn_xdlops_skip_b_lds_v1ILi256EfffLNS_25InMemoryDataOperationEnumE0ENS_16TensorDescriptorINS_5TupleIJNS_5EmbedINS4_IJiiEEENS4_IJiNS_17integral_constantIiLi1EEEEEELb0EEENS_7UnMergeINS4_IJiNS7_IiLi4EEEEEELb0EEENS_11PassThroughIiEEEEENS4_IJNS_8SequenceIJLi0EEEENSI_IJLi2EEEENSI_IJLi1EEEEEEENS4_IJNSI_IJLi1ELi2EEEENSI_IJLi3ELi4EEEENSI_IJLi5EEEEEEENSI_IJLi3ELi5ELi4EEEElEENS3_INS4_IJNS5_IS6_NS4_IJS8_iEEELb0EEESE_SG_EEENS4_IJSJ_SL_SK_EEESQ_SR_lEENS3_INS4_IJSA_SG_SG_EEESW_NS4_IJSN_NSI_IJLi3EEEENSI_IJLi4EEEEEEESO_lEENS_16tensor_operation12element_wise11PassThroughES15_S15_Li16ELi128ELi4ELi16ELi16ELi4ELi1ELi2ENSI_IJLi16ELi16ELi1EEEENSI_IJLi1ELi0ELi2EEEES17_Li2ELi4ELi4ELb0ELb1ELi4ELb0ELi4ENSI_IJLi0ELi2ELi4ELi5ELi6ELi1ELi3ELi7EEEELi7ELi1EEEffSS_SX_S12_S15_S15_S15_NS_13TensorAdaptorINS4_IJNSB_IS6_Lb0EEES1B_NS_23Merge_v2_magic_divisionINS4_IJiiiiEEEEEEEENS4_IJSJ_SL_NSI_IJLi2ELi3ELi4ELi5EEEEEEENS4_IJNSI_IJLi2ELi4EEEENSI_IJLi3ELi5EEEENSI_IJLi6EEEEEEENSI_IJLi0ELi1EEEES1K_EELb1EEEvPKT0_S1Q_PT1_T2_T3_T4_T5_T6_T7_T8_,"axG",@progbits,_ZN2ck32kernel_gemm_xdlops_skip_b_lds_v1INS_48GridwiseGemm_k0mk1_k0nk1_mn_xdlops_skip_b_lds_v1ILi256EfffLNS_25InMemoryDataOperationEnumE0ENS_16TensorDescriptorINS_5TupleIJNS_5EmbedINS4_IJiiEEENS4_IJiNS_17integral_constantIiLi1EEEEEELb0EEENS_7UnMergeINS4_IJiNS7_IiLi4EEEEEELb0EEENS_11PassThroughIiEEEEENS4_IJNS_8SequenceIJLi0EEEENSI_IJLi2EEEENSI_IJLi1EEEEEEENS4_IJNSI_IJLi1ELi2EEEENSI_IJLi3ELi4EEEENSI_IJLi5EEEEEEENSI_IJLi3ELi5ELi4EEEElEENS3_INS4_IJNS5_IS6_NS4_IJS8_iEEELb0EEESE_SG_EEENS4_IJSJ_SL_SK_EEESQ_SR_lEENS3_INS4_IJSA_SG_SG_EEESW_NS4_IJSN_NSI_IJLi3EEEENSI_IJLi4EEEEEEESO_lEENS_16tensor_operation12element_wise11PassThroughES15_S15_Li16ELi128ELi4ELi16ELi16ELi4ELi1ELi2ENSI_IJLi16ELi16ELi1EEEENSI_IJLi1ELi0ELi2EEEES17_Li2ELi4ELi4ELb0ELb1ELi4ELb0ELi4ENSI_IJLi0ELi2ELi4ELi5ELi6ELi1ELi3ELi7EEEELi7ELi1EEEffSS_SX_S12_S15_S15_S15_NS_13TensorAdaptorINS4_IJNSB_IS6_Lb0EEES1B_NS_23Merge_v2_magic_divisionINS4_IJiiiiEEEEEEEENS4_IJSJ_SL_NSI_IJLi2ELi3ELi4ELi5EEEEEEENS4_IJNSI_IJLi2ELi4EEEENSI_IJLi3ELi5EEEENSI_IJLi6EEEEEEENSI_IJLi0ELi1EEEES1K_EELb1EEEvPKT0_S1Q_PT1_T2_T3_T4_T5_T6_T7_T8_,comdat
	.protected	_ZN2ck32kernel_gemm_xdlops_skip_b_lds_v1INS_48GridwiseGemm_k0mk1_k0nk1_mn_xdlops_skip_b_lds_v1ILi256EfffLNS_25InMemoryDataOperationEnumE0ENS_16TensorDescriptorINS_5TupleIJNS_5EmbedINS4_IJiiEEENS4_IJiNS_17integral_constantIiLi1EEEEEELb0EEENS_7UnMergeINS4_IJiNS7_IiLi4EEEEEELb0EEENS_11PassThroughIiEEEEENS4_IJNS_8SequenceIJLi0EEEENSI_IJLi2EEEENSI_IJLi1EEEEEEENS4_IJNSI_IJLi1ELi2EEEENSI_IJLi3ELi4EEEENSI_IJLi5EEEEEEENSI_IJLi3ELi5ELi4EEEElEENS3_INS4_IJNS5_IS6_NS4_IJS8_iEEELb0EEESE_SG_EEENS4_IJSJ_SL_SK_EEESQ_SR_lEENS3_INS4_IJSA_SG_SG_EEESW_NS4_IJSN_NSI_IJLi3EEEENSI_IJLi4EEEEEEESO_lEENS_16tensor_operation12element_wise11PassThroughES15_S15_Li16ELi128ELi4ELi16ELi16ELi4ELi1ELi2ENSI_IJLi16ELi16ELi1EEEENSI_IJLi1ELi0ELi2EEEES17_Li2ELi4ELi4ELb0ELb1ELi4ELb0ELi4ENSI_IJLi0ELi2ELi4ELi5ELi6ELi1ELi3ELi7EEEELi7ELi1EEEffSS_SX_S12_S15_S15_S15_NS_13TensorAdaptorINS4_IJNSB_IS6_Lb0EEES1B_NS_23Merge_v2_magic_divisionINS4_IJiiiiEEEEEEEENS4_IJSJ_SL_NSI_IJLi2ELi3ELi4ELi5EEEEEEENS4_IJNSI_IJLi2ELi4EEEENSI_IJLi3ELi5EEEENSI_IJLi6EEEEEEENSI_IJLi0ELi1EEEES1K_EELb1EEEvPKT0_S1Q_PT1_T2_T3_T4_T5_T6_T7_T8_ ; -- Begin function _ZN2ck32kernel_gemm_xdlops_skip_b_lds_v1INS_48GridwiseGemm_k0mk1_k0nk1_mn_xdlops_skip_b_lds_v1ILi256EfffLNS_25InMemoryDataOperationEnumE0ENS_16TensorDescriptorINS_5TupleIJNS_5EmbedINS4_IJiiEEENS4_IJiNS_17integral_constantIiLi1EEEEEELb0EEENS_7UnMergeINS4_IJiNS7_IiLi4EEEEEELb0EEENS_11PassThroughIiEEEEENS4_IJNS_8SequenceIJLi0EEEENSI_IJLi2EEEENSI_IJLi1EEEEEEENS4_IJNSI_IJLi1ELi2EEEENSI_IJLi3ELi4EEEENSI_IJLi5EEEEEEENSI_IJLi3ELi5ELi4EEEElEENS3_INS4_IJNS5_IS6_NS4_IJS8_iEEELb0EEESE_SG_EEENS4_IJSJ_SL_SK_EEESQ_SR_lEENS3_INS4_IJSA_SG_SG_EEESW_NS4_IJSN_NSI_IJLi3EEEENSI_IJLi4EEEEEEESO_lEENS_16tensor_operation12element_wise11PassThroughES15_S15_Li16ELi128ELi4ELi16ELi16ELi4ELi1ELi2ENSI_IJLi16ELi16ELi1EEEENSI_IJLi1ELi0ELi2EEEES17_Li2ELi4ELi4ELb0ELb1ELi4ELb0ELi4ENSI_IJLi0ELi2ELi4ELi5ELi6ELi1ELi3ELi7EEEELi7ELi1EEEffSS_SX_S12_S15_S15_S15_NS_13TensorAdaptorINS4_IJNSB_IS6_Lb0EEES1B_NS_23Merge_v2_magic_divisionINS4_IJiiiiEEEEEEEENS4_IJSJ_SL_NSI_IJLi2ELi3ELi4ELi5EEEEEEENS4_IJNSI_IJLi2ELi4EEEENSI_IJLi3ELi5EEEENSI_IJLi6EEEEEEENSI_IJLi0ELi1EEEES1K_EELb1EEEvPKT0_S1Q_PT1_T2_T3_T4_T5_T6_T7_T8_
	.globl	_ZN2ck32kernel_gemm_xdlops_skip_b_lds_v1INS_48GridwiseGemm_k0mk1_k0nk1_mn_xdlops_skip_b_lds_v1ILi256EfffLNS_25InMemoryDataOperationEnumE0ENS_16TensorDescriptorINS_5TupleIJNS_5EmbedINS4_IJiiEEENS4_IJiNS_17integral_constantIiLi1EEEEEELb0EEENS_7UnMergeINS4_IJiNS7_IiLi4EEEEEELb0EEENS_11PassThroughIiEEEEENS4_IJNS_8SequenceIJLi0EEEENSI_IJLi2EEEENSI_IJLi1EEEEEEENS4_IJNSI_IJLi1ELi2EEEENSI_IJLi3ELi4EEEENSI_IJLi5EEEEEEENSI_IJLi3ELi5ELi4EEEElEENS3_INS4_IJNS5_IS6_NS4_IJS8_iEEELb0EEESE_SG_EEENS4_IJSJ_SL_SK_EEESQ_SR_lEENS3_INS4_IJSA_SG_SG_EEESW_NS4_IJSN_NSI_IJLi3EEEENSI_IJLi4EEEEEEESO_lEENS_16tensor_operation12element_wise11PassThroughES15_S15_Li16ELi128ELi4ELi16ELi16ELi4ELi1ELi2ENSI_IJLi16ELi16ELi1EEEENSI_IJLi1ELi0ELi2EEEES17_Li2ELi4ELi4ELb0ELb1ELi4ELb0ELi4ENSI_IJLi0ELi2ELi4ELi5ELi6ELi1ELi3ELi7EEEELi7ELi1EEEffSS_SX_S12_S15_S15_S15_NS_13TensorAdaptorINS4_IJNSB_IS6_Lb0EEES1B_NS_23Merge_v2_magic_divisionINS4_IJiiiiEEEEEEEENS4_IJSJ_SL_NSI_IJLi2ELi3ELi4ELi5EEEEEEENS4_IJNSI_IJLi2ELi4EEEENSI_IJLi3ELi5EEEENSI_IJLi6EEEEEEENSI_IJLi0ELi1EEEES1K_EELb1EEEvPKT0_S1Q_PT1_T2_T3_T4_T5_T6_T7_T8_
	.p2align	8
	.type	_ZN2ck32kernel_gemm_xdlops_skip_b_lds_v1INS_48GridwiseGemm_k0mk1_k0nk1_mn_xdlops_skip_b_lds_v1ILi256EfffLNS_25InMemoryDataOperationEnumE0ENS_16TensorDescriptorINS_5TupleIJNS_5EmbedINS4_IJiiEEENS4_IJiNS_17integral_constantIiLi1EEEEEELb0EEENS_7UnMergeINS4_IJiNS7_IiLi4EEEEEELb0EEENS_11PassThroughIiEEEEENS4_IJNS_8SequenceIJLi0EEEENSI_IJLi2EEEENSI_IJLi1EEEEEEENS4_IJNSI_IJLi1ELi2EEEENSI_IJLi3ELi4EEEENSI_IJLi5EEEEEEENSI_IJLi3ELi5ELi4EEEElEENS3_INS4_IJNS5_IS6_NS4_IJS8_iEEELb0EEESE_SG_EEENS4_IJSJ_SL_SK_EEESQ_SR_lEENS3_INS4_IJSA_SG_SG_EEESW_NS4_IJSN_NSI_IJLi3EEEENSI_IJLi4EEEEEEESO_lEENS_16tensor_operation12element_wise11PassThroughES15_S15_Li16ELi128ELi4ELi16ELi16ELi4ELi1ELi2ENSI_IJLi16ELi16ELi1EEEENSI_IJLi1ELi0ELi2EEEES17_Li2ELi4ELi4ELb0ELb1ELi4ELb0ELi4ENSI_IJLi0ELi2ELi4ELi5ELi6ELi1ELi3ELi7EEEELi7ELi1EEEffSS_SX_S12_S15_S15_S15_NS_13TensorAdaptorINS4_IJNSB_IS6_Lb0EEES1B_NS_23Merge_v2_magic_divisionINS4_IJiiiiEEEEEEEENS4_IJSJ_SL_NSI_IJLi2ELi3ELi4ELi5EEEEEEENS4_IJNSI_IJLi2ELi4EEEENSI_IJLi3ELi5EEEENSI_IJLi6EEEEEEENSI_IJLi0ELi1EEEES1K_EELb1EEEvPKT0_S1Q_PT1_T2_T3_T4_T5_T6_T7_T8_,@function
_ZN2ck32kernel_gemm_xdlops_skip_b_lds_v1INS_48GridwiseGemm_k0mk1_k0nk1_mn_xdlops_skip_b_lds_v1ILi256EfffLNS_25InMemoryDataOperationEnumE0ENS_16TensorDescriptorINS_5TupleIJNS_5EmbedINS4_IJiiEEENS4_IJiNS_17integral_constantIiLi1EEEEEELb0EEENS_7UnMergeINS4_IJiNS7_IiLi4EEEEEELb0EEENS_11PassThroughIiEEEEENS4_IJNS_8SequenceIJLi0EEEENSI_IJLi2EEEENSI_IJLi1EEEEEEENS4_IJNSI_IJLi1ELi2EEEENSI_IJLi3ELi4EEEENSI_IJLi5EEEEEEENSI_IJLi3ELi5ELi4EEEElEENS3_INS4_IJNS5_IS6_NS4_IJS8_iEEELb0EEESE_SG_EEENS4_IJSJ_SL_SK_EEESQ_SR_lEENS3_INS4_IJSA_SG_SG_EEESW_NS4_IJSN_NSI_IJLi3EEEENSI_IJLi4EEEEEEESO_lEENS_16tensor_operation12element_wise11PassThroughES15_S15_Li16ELi128ELi4ELi16ELi16ELi4ELi1ELi2ENSI_IJLi16ELi16ELi1EEEENSI_IJLi1ELi0ELi2EEEES17_Li2ELi4ELi4ELb0ELb1ELi4ELb0ELi4ENSI_IJLi0ELi2ELi4ELi5ELi6ELi1ELi3ELi7EEEELi7ELi1EEEffSS_SX_S12_S15_S15_S15_NS_13TensorAdaptorINS4_IJNSB_IS6_Lb0EEES1B_NS_23Merge_v2_magic_divisionINS4_IJiiiiEEEEEEEENS4_IJSJ_SL_NSI_IJLi2ELi3ELi4ELi5EEEEEEENS4_IJNSI_IJLi2ELi4EEEENSI_IJLi3ELi5EEEENSI_IJLi6EEEEEEENSI_IJLi0ELi1EEEES1K_EELb1EEEvPKT0_S1Q_PT1_T2_T3_T4_T5_T6_T7_T8_: ; @_ZN2ck32kernel_gemm_xdlops_skip_b_lds_v1INS_48GridwiseGemm_k0mk1_k0nk1_mn_xdlops_skip_b_lds_v1ILi256EfffLNS_25InMemoryDataOperationEnumE0ENS_16TensorDescriptorINS_5TupleIJNS_5EmbedINS4_IJiiEEENS4_IJiNS_17integral_constantIiLi1EEEEEELb0EEENS_7UnMergeINS4_IJiNS7_IiLi4EEEEEELb0EEENS_11PassThroughIiEEEEENS4_IJNS_8SequenceIJLi0EEEENSI_IJLi2EEEENSI_IJLi1EEEEEEENS4_IJNSI_IJLi1ELi2EEEENSI_IJLi3ELi4EEEENSI_IJLi5EEEEEEENSI_IJLi3ELi5ELi4EEEElEENS3_INS4_IJNS5_IS6_NS4_IJS8_iEEELb0EEESE_SG_EEENS4_IJSJ_SL_SK_EEESQ_SR_lEENS3_INS4_IJSA_SG_SG_EEESW_NS4_IJSN_NSI_IJLi3EEEENSI_IJLi4EEEEEEESO_lEENS_16tensor_operation12element_wise11PassThroughES15_S15_Li16ELi128ELi4ELi16ELi16ELi4ELi1ELi2ENSI_IJLi16ELi16ELi1EEEENSI_IJLi1ELi0ELi2EEEES17_Li2ELi4ELi4ELb0ELb1ELi4ELb0ELi4ENSI_IJLi0ELi2ELi4ELi5ELi6ELi1ELi3ELi7EEEELi7ELi1EEEffSS_SX_S12_S15_S15_S15_NS_13TensorAdaptorINS4_IJNSB_IS6_Lb0EEES1B_NS_23Merge_v2_magic_divisionINS4_IJiiiiEEEEEEEENS4_IJSJ_SL_NSI_IJLi2ELi3ELi4ELi5EEEEEEENS4_IJNSI_IJLi2ELi4EEEENSI_IJLi3ELi5EEEENSI_IJLi6EEEEEEENSI_IJLi0ELi1EEEES1K_EELb1EEEvPKT0_S1Q_PT1_T2_T3_T4_T5_T6_T7_T8_
; %bb.0:
	s_endpgm
	.section	.rodata,"a",@progbits
	.p2align	6, 0x0
	.amdhsa_kernel _ZN2ck32kernel_gemm_xdlops_skip_b_lds_v1INS_48GridwiseGemm_k0mk1_k0nk1_mn_xdlops_skip_b_lds_v1ILi256EfffLNS_25InMemoryDataOperationEnumE0ENS_16TensorDescriptorINS_5TupleIJNS_5EmbedINS4_IJiiEEENS4_IJiNS_17integral_constantIiLi1EEEEEELb0EEENS_7UnMergeINS4_IJiNS7_IiLi4EEEEEELb0EEENS_11PassThroughIiEEEEENS4_IJNS_8SequenceIJLi0EEEENSI_IJLi2EEEENSI_IJLi1EEEEEEENS4_IJNSI_IJLi1ELi2EEEENSI_IJLi3ELi4EEEENSI_IJLi5EEEEEEENSI_IJLi3ELi5ELi4EEEElEENS3_INS4_IJNS5_IS6_NS4_IJS8_iEEELb0EEESE_SG_EEENS4_IJSJ_SL_SK_EEESQ_SR_lEENS3_INS4_IJSA_SG_SG_EEESW_NS4_IJSN_NSI_IJLi3EEEENSI_IJLi4EEEEEEESO_lEENS_16tensor_operation12element_wise11PassThroughES15_S15_Li16ELi128ELi4ELi16ELi16ELi4ELi1ELi2ENSI_IJLi16ELi16ELi1EEEENSI_IJLi1ELi0ELi2EEEES17_Li2ELi4ELi4ELb0ELb1ELi4ELb0ELi4ENSI_IJLi0ELi2ELi4ELi5ELi6ELi1ELi3ELi7EEEELi7ELi1EEEffSS_SX_S12_S15_S15_S15_NS_13TensorAdaptorINS4_IJNSB_IS6_Lb0EEES1B_NS_23Merge_v2_magic_divisionINS4_IJiiiiEEEEEEEENS4_IJSJ_SL_NSI_IJLi2ELi3ELi4ELi5EEEEEEENS4_IJNSI_IJLi2ELi4EEEENSI_IJLi3ELi5EEEENSI_IJLi6EEEEEEENSI_IJLi0ELi1EEEES1K_EELb1EEEvPKT0_S1Q_PT1_T2_T3_T4_T5_T6_T7_T8_
		.amdhsa_group_segment_fixed_size 0
		.amdhsa_private_segment_fixed_size 0
		.amdhsa_kernarg_size 252
		.amdhsa_user_sgpr_count 6
		.amdhsa_user_sgpr_private_segment_buffer 1
		.amdhsa_user_sgpr_dispatch_ptr 0
		.amdhsa_user_sgpr_queue_ptr 0
		.amdhsa_user_sgpr_kernarg_segment_ptr 1
		.amdhsa_user_sgpr_dispatch_id 0
		.amdhsa_user_sgpr_flat_scratch_init 0
		.amdhsa_user_sgpr_private_segment_size 0
		.amdhsa_uses_dynamic_stack 0
		.amdhsa_system_sgpr_private_segment_wavefront_offset 0
		.amdhsa_system_sgpr_workgroup_id_x 1
		.amdhsa_system_sgpr_workgroup_id_y 0
		.amdhsa_system_sgpr_workgroup_id_z 0
		.amdhsa_system_sgpr_workgroup_info 0
		.amdhsa_system_vgpr_workitem_id 0
		.amdhsa_next_free_vgpr 1
		.amdhsa_next_free_sgpr 0
		.amdhsa_reserve_vcc 0
		.amdhsa_reserve_flat_scratch 0
		.amdhsa_float_round_mode_32 0
		.amdhsa_float_round_mode_16_64 0
		.amdhsa_float_denorm_mode_32 3
		.amdhsa_float_denorm_mode_16_64 3
		.amdhsa_dx10_clamp 1
		.amdhsa_ieee_mode 1
		.amdhsa_fp16_overflow 0
		.amdhsa_exception_fp_ieee_invalid_op 0
		.amdhsa_exception_fp_denorm_src 0
		.amdhsa_exception_fp_ieee_div_zero 0
		.amdhsa_exception_fp_ieee_overflow 0
		.amdhsa_exception_fp_ieee_underflow 0
		.amdhsa_exception_fp_ieee_inexact 0
		.amdhsa_exception_int_div_zero 0
	.end_amdhsa_kernel
	.section	.text._ZN2ck32kernel_gemm_xdlops_skip_b_lds_v1INS_48GridwiseGemm_k0mk1_k0nk1_mn_xdlops_skip_b_lds_v1ILi256EfffLNS_25InMemoryDataOperationEnumE0ENS_16TensorDescriptorINS_5TupleIJNS_5EmbedINS4_IJiiEEENS4_IJiNS_17integral_constantIiLi1EEEEEELb0EEENS_7UnMergeINS4_IJiNS7_IiLi4EEEEEELb0EEENS_11PassThroughIiEEEEENS4_IJNS_8SequenceIJLi0EEEENSI_IJLi2EEEENSI_IJLi1EEEEEEENS4_IJNSI_IJLi1ELi2EEEENSI_IJLi3ELi4EEEENSI_IJLi5EEEEEEENSI_IJLi3ELi5ELi4EEEElEENS3_INS4_IJNS5_IS6_NS4_IJS8_iEEELb0EEESE_SG_EEENS4_IJSJ_SL_SK_EEESQ_SR_lEENS3_INS4_IJSA_SG_SG_EEESW_NS4_IJSN_NSI_IJLi3EEEENSI_IJLi4EEEEEEESO_lEENS_16tensor_operation12element_wise11PassThroughES15_S15_Li16ELi128ELi4ELi16ELi16ELi4ELi1ELi2ENSI_IJLi16ELi16ELi1EEEENSI_IJLi1ELi0ELi2EEEES17_Li2ELi4ELi4ELb0ELb1ELi4ELb0ELi4ENSI_IJLi0ELi2ELi4ELi5ELi6ELi1ELi3ELi7EEEELi7ELi1EEEffSS_SX_S12_S15_S15_S15_NS_13TensorAdaptorINS4_IJNSB_IS6_Lb0EEES1B_NS_23Merge_v2_magic_divisionINS4_IJiiiiEEEEEEEENS4_IJSJ_SL_NSI_IJLi2ELi3ELi4ELi5EEEEEEENS4_IJNSI_IJLi2ELi4EEEENSI_IJLi3ELi5EEEENSI_IJLi6EEEEEEENSI_IJLi0ELi1EEEES1K_EELb1EEEvPKT0_S1Q_PT1_T2_T3_T4_T5_T6_T7_T8_,"axG",@progbits,_ZN2ck32kernel_gemm_xdlops_skip_b_lds_v1INS_48GridwiseGemm_k0mk1_k0nk1_mn_xdlops_skip_b_lds_v1ILi256EfffLNS_25InMemoryDataOperationEnumE0ENS_16TensorDescriptorINS_5TupleIJNS_5EmbedINS4_IJiiEEENS4_IJiNS_17integral_constantIiLi1EEEEEELb0EEENS_7UnMergeINS4_IJiNS7_IiLi4EEEEEELb0EEENS_11PassThroughIiEEEEENS4_IJNS_8SequenceIJLi0EEEENSI_IJLi2EEEENSI_IJLi1EEEEEEENS4_IJNSI_IJLi1ELi2EEEENSI_IJLi3ELi4EEEENSI_IJLi5EEEEEEENSI_IJLi3ELi5ELi4EEEElEENS3_INS4_IJNS5_IS6_NS4_IJS8_iEEELb0EEESE_SG_EEENS4_IJSJ_SL_SK_EEESQ_SR_lEENS3_INS4_IJSA_SG_SG_EEESW_NS4_IJSN_NSI_IJLi3EEEENSI_IJLi4EEEEEEESO_lEENS_16tensor_operation12element_wise11PassThroughES15_S15_Li16ELi128ELi4ELi16ELi16ELi4ELi1ELi2ENSI_IJLi16ELi16ELi1EEEENSI_IJLi1ELi0ELi2EEEES17_Li2ELi4ELi4ELb0ELb1ELi4ELb0ELi4ENSI_IJLi0ELi2ELi4ELi5ELi6ELi1ELi3ELi7EEEELi7ELi1EEEffSS_SX_S12_S15_S15_S15_NS_13TensorAdaptorINS4_IJNSB_IS6_Lb0EEES1B_NS_23Merge_v2_magic_divisionINS4_IJiiiiEEEEEEEENS4_IJSJ_SL_NSI_IJLi2ELi3ELi4ELi5EEEEEEENS4_IJNSI_IJLi2ELi4EEEENSI_IJLi3ELi5EEEENSI_IJLi6EEEEEEENSI_IJLi0ELi1EEEES1K_EELb1EEEvPKT0_S1Q_PT1_T2_T3_T4_T5_T6_T7_T8_,comdat
.Lfunc_end1:
	.size	_ZN2ck32kernel_gemm_xdlops_skip_b_lds_v1INS_48GridwiseGemm_k0mk1_k0nk1_mn_xdlops_skip_b_lds_v1ILi256EfffLNS_25InMemoryDataOperationEnumE0ENS_16TensorDescriptorINS_5TupleIJNS_5EmbedINS4_IJiiEEENS4_IJiNS_17integral_constantIiLi1EEEEEELb0EEENS_7UnMergeINS4_IJiNS7_IiLi4EEEEEELb0EEENS_11PassThroughIiEEEEENS4_IJNS_8SequenceIJLi0EEEENSI_IJLi2EEEENSI_IJLi1EEEEEEENS4_IJNSI_IJLi1ELi2EEEENSI_IJLi3ELi4EEEENSI_IJLi5EEEEEEENSI_IJLi3ELi5ELi4EEEElEENS3_INS4_IJNS5_IS6_NS4_IJS8_iEEELb0EEESE_SG_EEENS4_IJSJ_SL_SK_EEESQ_SR_lEENS3_INS4_IJSA_SG_SG_EEESW_NS4_IJSN_NSI_IJLi3EEEENSI_IJLi4EEEEEEESO_lEENS_16tensor_operation12element_wise11PassThroughES15_S15_Li16ELi128ELi4ELi16ELi16ELi4ELi1ELi2ENSI_IJLi16ELi16ELi1EEEENSI_IJLi1ELi0ELi2EEEES17_Li2ELi4ELi4ELb0ELb1ELi4ELb0ELi4ENSI_IJLi0ELi2ELi4ELi5ELi6ELi1ELi3ELi7EEEELi7ELi1EEEffSS_SX_S12_S15_S15_S15_NS_13TensorAdaptorINS4_IJNSB_IS6_Lb0EEES1B_NS_23Merge_v2_magic_divisionINS4_IJiiiiEEEEEEEENS4_IJSJ_SL_NSI_IJLi2ELi3ELi4ELi5EEEEEEENS4_IJNSI_IJLi2ELi4EEEENSI_IJLi3ELi5EEEENSI_IJLi6EEEEEEENSI_IJLi0ELi1EEEES1K_EELb1EEEvPKT0_S1Q_PT1_T2_T3_T4_T5_T6_T7_T8_, .Lfunc_end1-_ZN2ck32kernel_gemm_xdlops_skip_b_lds_v1INS_48GridwiseGemm_k0mk1_k0nk1_mn_xdlops_skip_b_lds_v1ILi256EfffLNS_25InMemoryDataOperationEnumE0ENS_16TensorDescriptorINS_5TupleIJNS_5EmbedINS4_IJiiEEENS4_IJiNS_17integral_constantIiLi1EEEEEELb0EEENS_7UnMergeINS4_IJiNS7_IiLi4EEEEEELb0EEENS_11PassThroughIiEEEEENS4_IJNS_8SequenceIJLi0EEEENSI_IJLi2EEEENSI_IJLi1EEEEEEENS4_IJNSI_IJLi1ELi2EEEENSI_IJLi3ELi4EEEENSI_IJLi5EEEEEEENSI_IJLi3ELi5ELi4EEEElEENS3_INS4_IJNS5_IS6_NS4_IJS8_iEEELb0EEESE_SG_EEENS4_IJSJ_SL_SK_EEESQ_SR_lEENS3_INS4_IJSA_SG_SG_EEESW_NS4_IJSN_NSI_IJLi3EEEENSI_IJLi4EEEEEEESO_lEENS_16tensor_operation12element_wise11PassThroughES15_S15_Li16ELi128ELi4ELi16ELi16ELi4ELi1ELi2ENSI_IJLi16ELi16ELi1EEEENSI_IJLi1ELi0ELi2EEEES17_Li2ELi4ELi4ELb0ELb1ELi4ELb0ELi4ENSI_IJLi0ELi2ELi4ELi5ELi6ELi1ELi3ELi7EEEELi7ELi1EEEffSS_SX_S12_S15_S15_S15_NS_13TensorAdaptorINS4_IJNSB_IS6_Lb0EEES1B_NS_23Merge_v2_magic_divisionINS4_IJiiiiEEEEEEEENS4_IJSJ_SL_NSI_IJLi2ELi3ELi4ELi5EEEEEEENS4_IJNSI_IJLi2ELi4EEEENSI_IJLi3ELi5EEEENSI_IJLi6EEEEEEENSI_IJLi0ELi1EEEES1K_EELb1EEEvPKT0_S1Q_PT1_T2_T3_T4_T5_T6_T7_T8_
                                        ; -- End function
	.set _ZN2ck32kernel_gemm_xdlops_skip_b_lds_v1INS_48GridwiseGemm_k0mk1_k0nk1_mn_xdlops_skip_b_lds_v1ILi256EfffLNS_25InMemoryDataOperationEnumE0ENS_16TensorDescriptorINS_5TupleIJNS_5EmbedINS4_IJiiEEENS4_IJiNS_17integral_constantIiLi1EEEEEELb0EEENS_7UnMergeINS4_IJiNS7_IiLi4EEEEEELb0EEENS_11PassThroughIiEEEEENS4_IJNS_8SequenceIJLi0EEEENSI_IJLi2EEEENSI_IJLi1EEEEEEENS4_IJNSI_IJLi1ELi2EEEENSI_IJLi3ELi4EEEENSI_IJLi5EEEEEEENSI_IJLi3ELi5ELi4EEEElEENS3_INS4_IJNS5_IS6_NS4_IJS8_iEEELb0EEESE_SG_EEENS4_IJSJ_SL_SK_EEESQ_SR_lEENS3_INS4_IJSA_SG_SG_EEESW_NS4_IJSN_NSI_IJLi3EEEENSI_IJLi4EEEEEEESO_lEENS_16tensor_operation12element_wise11PassThroughES15_S15_Li16ELi128ELi4ELi16ELi16ELi4ELi1ELi2ENSI_IJLi16ELi16ELi1EEEENSI_IJLi1ELi0ELi2EEEES17_Li2ELi4ELi4ELb0ELb1ELi4ELb0ELi4ENSI_IJLi0ELi2ELi4ELi5ELi6ELi1ELi3ELi7EEEELi7ELi1EEEffSS_SX_S12_S15_S15_S15_NS_13TensorAdaptorINS4_IJNSB_IS6_Lb0EEES1B_NS_23Merge_v2_magic_divisionINS4_IJiiiiEEEEEEEENS4_IJSJ_SL_NSI_IJLi2ELi3ELi4ELi5EEEEEEENS4_IJNSI_IJLi2ELi4EEEENSI_IJLi3ELi5EEEENSI_IJLi6EEEEEEENSI_IJLi0ELi1EEEES1K_EELb1EEEvPKT0_S1Q_PT1_T2_T3_T4_T5_T6_T7_T8_.num_vgpr, 0
	.set _ZN2ck32kernel_gemm_xdlops_skip_b_lds_v1INS_48GridwiseGemm_k0mk1_k0nk1_mn_xdlops_skip_b_lds_v1ILi256EfffLNS_25InMemoryDataOperationEnumE0ENS_16TensorDescriptorINS_5TupleIJNS_5EmbedINS4_IJiiEEENS4_IJiNS_17integral_constantIiLi1EEEEEELb0EEENS_7UnMergeINS4_IJiNS7_IiLi4EEEEEELb0EEENS_11PassThroughIiEEEEENS4_IJNS_8SequenceIJLi0EEEENSI_IJLi2EEEENSI_IJLi1EEEEEEENS4_IJNSI_IJLi1ELi2EEEENSI_IJLi3ELi4EEEENSI_IJLi5EEEEEEENSI_IJLi3ELi5ELi4EEEElEENS3_INS4_IJNS5_IS6_NS4_IJS8_iEEELb0EEESE_SG_EEENS4_IJSJ_SL_SK_EEESQ_SR_lEENS3_INS4_IJSA_SG_SG_EEESW_NS4_IJSN_NSI_IJLi3EEEENSI_IJLi4EEEEEEESO_lEENS_16tensor_operation12element_wise11PassThroughES15_S15_Li16ELi128ELi4ELi16ELi16ELi4ELi1ELi2ENSI_IJLi16ELi16ELi1EEEENSI_IJLi1ELi0ELi2EEEES17_Li2ELi4ELi4ELb0ELb1ELi4ELb0ELi4ENSI_IJLi0ELi2ELi4ELi5ELi6ELi1ELi3ELi7EEEELi7ELi1EEEffSS_SX_S12_S15_S15_S15_NS_13TensorAdaptorINS4_IJNSB_IS6_Lb0EEES1B_NS_23Merge_v2_magic_divisionINS4_IJiiiiEEEEEEEENS4_IJSJ_SL_NSI_IJLi2ELi3ELi4ELi5EEEEEEENS4_IJNSI_IJLi2ELi4EEEENSI_IJLi3ELi5EEEENSI_IJLi6EEEEEEENSI_IJLi0ELi1EEEES1K_EELb1EEEvPKT0_S1Q_PT1_T2_T3_T4_T5_T6_T7_T8_.num_agpr, 0
	.set _ZN2ck32kernel_gemm_xdlops_skip_b_lds_v1INS_48GridwiseGemm_k0mk1_k0nk1_mn_xdlops_skip_b_lds_v1ILi256EfffLNS_25InMemoryDataOperationEnumE0ENS_16TensorDescriptorINS_5TupleIJNS_5EmbedINS4_IJiiEEENS4_IJiNS_17integral_constantIiLi1EEEEEELb0EEENS_7UnMergeINS4_IJiNS7_IiLi4EEEEEELb0EEENS_11PassThroughIiEEEEENS4_IJNS_8SequenceIJLi0EEEENSI_IJLi2EEEENSI_IJLi1EEEEEEENS4_IJNSI_IJLi1ELi2EEEENSI_IJLi3ELi4EEEENSI_IJLi5EEEEEEENSI_IJLi3ELi5ELi4EEEElEENS3_INS4_IJNS5_IS6_NS4_IJS8_iEEELb0EEESE_SG_EEENS4_IJSJ_SL_SK_EEESQ_SR_lEENS3_INS4_IJSA_SG_SG_EEESW_NS4_IJSN_NSI_IJLi3EEEENSI_IJLi4EEEEEEESO_lEENS_16tensor_operation12element_wise11PassThroughES15_S15_Li16ELi128ELi4ELi16ELi16ELi4ELi1ELi2ENSI_IJLi16ELi16ELi1EEEENSI_IJLi1ELi0ELi2EEEES17_Li2ELi4ELi4ELb0ELb1ELi4ELb0ELi4ENSI_IJLi0ELi2ELi4ELi5ELi6ELi1ELi3ELi7EEEELi7ELi1EEEffSS_SX_S12_S15_S15_S15_NS_13TensorAdaptorINS4_IJNSB_IS6_Lb0EEES1B_NS_23Merge_v2_magic_divisionINS4_IJiiiiEEEEEEEENS4_IJSJ_SL_NSI_IJLi2ELi3ELi4ELi5EEEEEEENS4_IJNSI_IJLi2ELi4EEEENSI_IJLi3ELi5EEEENSI_IJLi6EEEEEEENSI_IJLi0ELi1EEEES1K_EELb1EEEvPKT0_S1Q_PT1_T2_T3_T4_T5_T6_T7_T8_.numbered_sgpr, 0
	.set _ZN2ck32kernel_gemm_xdlops_skip_b_lds_v1INS_48GridwiseGemm_k0mk1_k0nk1_mn_xdlops_skip_b_lds_v1ILi256EfffLNS_25InMemoryDataOperationEnumE0ENS_16TensorDescriptorINS_5TupleIJNS_5EmbedINS4_IJiiEEENS4_IJiNS_17integral_constantIiLi1EEEEEELb0EEENS_7UnMergeINS4_IJiNS7_IiLi4EEEEEELb0EEENS_11PassThroughIiEEEEENS4_IJNS_8SequenceIJLi0EEEENSI_IJLi2EEEENSI_IJLi1EEEEEEENS4_IJNSI_IJLi1ELi2EEEENSI_IJLi3ELi4EEEENSI_IJLi5EEEEEEENSI_IJLi3ELi5ELi4EEEElEENS3_INS4_IJNS5_IS6_NS4_IJS8_iEEELb0EEESE_SG_EEENS4_IJSJ_SL_SK_EEESQ_SR_lEENS3_INS4_IJSA_SG_SG_EEESW_NS4_IJSN_NSI_IJLi3EEEENSI_IJLi4EEEEEEESO_lEENS_16tensor_operation12element_wise11PassThroughES15_S15_Li16ELi128ELi4ELi16ELi16ELi4ELi1ELi2ENSI_IJLi16ELi16ELi1EEEENSI_IJLi1ELi0ELi2EEEES17_Li2ELi4ELi4ELb0ELb1ELi4ELb0ELi4ENSI_IJLi0ELi2ELi4ELi5ELi6ELi1ELi3ELi7EEEELi7ELi1EEEffSS_SX_S12_S15_S15_S15_NS_13TensorAdaptorINS4_IJNSB_IS6_Lb0EEES1B_NS_23Merge_v2_magic_divisionINS4_IJiiiiEEEEEEEENS4_IJSJ_SL_NSI_IJLi2ELi3ELi4ELi5EEEEEEENS4_IJNSI_IJLi2ELi4EEEENSI_IJLi3ELi5EEEENSI_IJLi6EEEEEEENSI_IJLi0ELi1EEEES1K_EELb1EEEvPKT0_S1Q_PT1_T2_T3_T4_T5_T6_T7_T8_.num_named_barrier, 0
	.set _ZN2ck32kernel_gemm_xdlops_skip_b_lds_v1INS_48GridwiseGemm_k0mk1_k0nk1_mn_xdlops_skip_b_lds_v1ILi256EfffLNS_25InMemoryDataOperationEnumE0ENS_16TensorDescriptorINS_5TupleIJNS_5EmbedINS4_IJiiEEENS4_IJiNS_17integral_constantIiLi1EEEEEELb0EEENS_7UnMergeINS4_IJiNS7_IiLi4EEEEEELb0EEENS_11PassThroughIiEEEEENS4_IJNS_8SequenceIJLi0EEEENSI_IJLi2EEEENSI_IJLi1EEEEEEENS4_IJNSI_IJLi1ELi2EEEENSI_IJLi3ELi4EEEENSI_IJLi5EEEEEEENSI_IJLi3ELi5ELi4EEEElEENS3_INS4_IJNS5_IS6_NS4_IJS8_iEEELb0EEESE_SG_EEENS4_IJSJ_SL_SK_EEESQ_SR_lEENS3_INS4_IJSA_SG_SG_EEESW_NS4_IJSN_NSI_IJLi3EEEENSI_IJLi4EEEEEEESO_lEENS_16tensor_operation12element_wise11PassThroughES15_S15_Li16ELi128ELi4ELi16ELi16ELi4ELi1ELi2ENSI_IJLi16ELi16ELi1EEEENSI_IJLi1ELi0ELi2EEEES17_Li2ELi4ELi4ELb0ELb1ELi4ELb0ELi4ENSI_IJLi0ELi2ELi4ELi5ELi6ELi1ELi3ELi7EEEELi7ELi1EEEffSS_SX_S12_S15_S15_S15_NS_13TensorAdaptorINS4_IJNSB_IS6_Lb0EEES1B_NS_23Merge_v2_magic_divisionINS4_IJiiiiEEEEEEEENS4_IJSJ_SL_NSI_IJLi2ELi3ELi4ELi5EEEEEEENS4_IJNSI_IJLi2ELi4EEEENSI_IJLi3ELi5EEEENSI_IJLi6EEEEEEENSI_IJLi0ELi1EEEES1K_EELb1EEEvPKT0_S1Q_PT1_T2_T3_T4_T5_T6_T7_T8_.private_seg_size, 0
	.set _ZN2ck32kernel_gemm_xdlops_skip_b_lds_v1INS_48GridwiseGemm_k0mk1_k0nk1_mn_xdlops_skip_b_lds_v1ILi256EfffLNS_25InMemoryDataOperationEnumE0ENS_16TensorDescriptorINS_5TupleIJNS_5EmbedINS4_IJiiEEENS4_IJiNS_17integral_constantIiLi1EEEEEELb0EEENS_7UnMergeINS4_IJiNS7_IiLi4EEEEEELb0EEENS_11PassThroughIiEEEEENS4_IJNS_8SequenceIJLi0EEEENSI_IJLi2EEEENSI_IJLi1EEEEEEENS4_IJNSI_IJLi1ELi2EEEENSI_IJLi3ELi4EEEENSI_IJLi5EEEEEEENSI_IJLi3ELi5ELi4EEEElEENS3_INS4_IJNS5_IS6_NS4_IJS8_iEEELb0EEESE_SG_EEENS4_IJSJ_SL_SK_EEESQ_SR_lEENS3_INS4_IJSA_SG_SG_EEESW_NS4_IJSN_NSI_IJLi3EEEENSI_IJLi4EEEEEEESO_lEENS_16tensor_operation12element_wise11PassThroughES15_S15_Li16ELi128ELi4ELi16ELi16ELi4ELi1ELi2ENSI_IJLi16ELi16ELi1EEEENSI_IJLi1ELi0ELi2EEEES17_Li2ELi4ELi4ELb0ELb1ELi4ELb0ELi4ENSI_IJLi0ELi2ELi4ELi5ELi6ELi1ELi3ELi7EEEELi7ELi1EEEffSS_SX_S12_S15_S15_S15_NS_13TensorAdaptorINS4_IJNSB_IS6_Lb0EEES1B_NS_23Merge_v2_magic_divisionINS4_IJiiiiEEEEEEEENS4_IJSJ_SL_NSI_IJLi2ELi3ELi4ELi5EEEEEEENS4_IJNSI_IJLi2ELi4EEEENSI_IJLi3ELi5EEEENSI_IJLi6EEEEEEENSI_IJLi0ELi1EEEES1K_EELb1EEEvPKT0_S1Q_PT1_T2_T3_T4_T5_T6_T7_T8_.uses_vcc, 0
	.set _ZN2ck32kernel_gemm_xdlops_skip_b_lds_v1INS_48GridwiseGemm_k0mk1_k0nk1_mn_xdlops_skip_b_lds_v1ILi256EfffLNS_25InMemoryDataOperationEnumE0ENS_16TensorDescriptorINS_5TupleIJNS_5EmbedINS4_IJiiEEENS4_IJiNS_17integral_constantIiLi1EEEEEELb0EEENS_7UnMergeINS4_IJiNS7_IiLi4EEEEEELb0EEENS_11PassThroughIiEEEEENS4_IJNS_8SequenceIJLi0EEEENSI_IJLi2EEEENSI_IJLi1EEEEEEENS4_IJNSI_IJLi1ELi2EEEENSI_IJLi3ELi4EEEENSI_IJLi5EEEEEEENSI_IJLi3ELi5ELi4EEEElEENS3_INS4_IJNS5_IS6_NS4_IJS8_iEEELb0EEESE_SG_EEENS4_IJSJ_SL_SK_EEESQ_SR_lEENS3_INS4_IJSA_SG_SG_EEESW_NS4_IJSN_NSI_IJLi3EEEENSI_IJLi4EEEEEEESO_lEENS_16tensor_operation12element_wise11PassThroughES15_S15_Li16ELi128ELi4ELi16ELi16ELi4ELi1ELi2ENSI_IJLi16ELi16ELi1EEEENSI_IJLi1ELi0ELi2EEEES17_Li2ELi4ELi4ELb0ELb1ELi4ELb0ELi4ENSI_IJLi0ELi2ELi4ELi5ELi6ELi1ELi3ELi7EEEELi7ELi1EEEffSS_SX_S12_S15_S15_S15_NS_13TensorAdaptorINS4_IJNSB_IS6_Lb0EEES1B_NS_23Merge_v2_magic_divisionINS4_IJiiiiEEEEEEEENS4_IJSJ_SL_NSI_IJLi2ELi3ELi4ELi5EEEEEEENS4_IJNSI_IJLi2ELi4EEEENSI_IJLi3ELi5EEEENSI_IJLi6EEEEEEENSI_IJLi0ELi1EEEES1K_EELb1EEEvPKT0_S1Q_PT1_T2_T3_T4_T5_T6_T7_T8_.uses_flat_scratch, 0
	.set _ZN2ck32kernel_gemm_xdlops_skip_b_lds_v1INS_48GridwiseGemm_k0mk1_k0nk1_mn_xdlops_skip_b_lds_v1ILi256EfffLNS_25InMemoryDataOperationEnumE0ENS_16TensorDescriptorINS_5TupleIJNS_5EmbedINS4_IJiiEEENS4_IJiNS_17integral_constantIiLi1EEEEEELb0EEENS_7UnMergeINS4_IJiNS7_IiLi4EEEEEELb0EEENS_11PassThroughIiEEEEENS4_IJNS_8SequenceIJLi0EEEENSI_IJLi2EEEENSI_IJLi1EEEEEEENS4_IJNSI_IJLi1ELi2EEEENSI_IJLi3ELi4EEEENSI_IJLi5EEEEEEENSI_IJLi3ELi5ELi4EEEElEENS3_INS4_IJNS5_IS6_NS4_IJS8_iEEELb0EEESE_SG_EEENS4_IJSJ_SL_SK_EEESQ_SR_lEENS3_INS4_IJSA_SG_SG_EEESW_NS4_IJSN_NSI_IJLi3EEEENSI_IJLi4EEEEEEESO_lEENS_16tensor_operation12element_wise11PassThroughES15_S15_Li16ELi128ELi4ELi16ELi16ELi4ELi1ELi2ENSI_IJLi16ELi16ELi1EEEENSI_IJLi1ELi0ELi2EEEES17_Li2ELi4ELi4ELb0ELb1ELi4ELb0ELi4ENSI_IJLi0ELi2ELi4ELi5ELi6ELi1ELi3ELi7EEEELi7ELi1EEEffSS_SX_S12_S15_S15_S15_NS_13TensorAdaptorINS4_IJNSB_IS6_Lb0EEES1B_NS_23Merge_v2_magic_divisionINS4_IJiiiiEEEEEEEENS4_IJSJ_SL_NSI_IJLi2ELi3ELi4ELi5EEEEEEENS4_IJNSI_IJLi2ELi4EEEENSI_IJLi3ELi5EEEENSI_IJLi6EEEEEEENSI_IJLi0ELi1EEEES1K_EELb1EEEvPKT0_S1Q_PT1_T2_T3_T4_T5_T6_T7_T8_.has_dyn_sized_stack, 0
	.set _ZN2ck32kernel_gemm_xdlops_skip_b_lds_v1INS_48GridwiseGemm_k0mk1_k0nk1_mn_xdlops_skip_b_lds_v1ILi256EfffLNS_25InMemoryDataOperationEnumE0ENS_16TensorDescriptorINS_5TupleIJNS_5EmbedINS4_IJiiEEENS4_IJiNS_17integral_constantIiLi1EEEEEELb0EEENS_7UnMergeINS4_IJiNS7_IiLi4EEEEEELb0EEENS_11PassThroughIiEEEEENS4_IJNS_8SequenceIJLi0EEEENSI_IJLi2EEEENSI_IJLi1EEEEEEENS4_IJNSI_IJLi1ELi2EEEENSI_IJLi3ELi4EEEENSI_IJLi5EEEEEEENSI_IJLi3ELi5ELi4EEEElEENS3_INS4_IJNS5_IS6_NS4_IJS8_iEEELb0EEESE_SG_EEENS4_IJSJ_SL_SK_EEESQ_SR_lEENS3_INS4_IJSA_SG_SG_EEESW_NS4_IJSN_NSI_IJLi3EEEENSI_IJLi4EEEEEEESO_lEENS_16tensor_operation12element_wise11PassThroughES15_S15_Li16ELi128ELi4ELi16ELi16ELi4ELi1ELi2ENSI_IJLi16ELi16ELi1EEEENSI_IJLi1ELi0ELi2EEEES17_Li2ELi4ELi4ELb0ELb1ELi4ELb0ELi4ENSI_IJLi0ELi2ELi4ELi5ELi6ELi1ELi3ELi7EEEELi7ELi1EEEffSS_SX_S12_S15_S15_S15_NS_13TensorAdaptorINS4_IJNSB_IS6_Lb0EEES1B_NS_23Merge_v2_magic_divisionINS4_IJiiiiEEEEEEEENS4_IJSJ_SL_NSI_IJLi2ELi3ELi4ELi5EEEEEEENS4_IJNSI_IJLi2ELi4EEEENSI_IJLi3ELi5EEEENSI_IJLi6EEEEEEENSI_IJLi0ELi1EEEES1K_EELb1EEEvPKT0_S1Q_PT1_T2_T3_T4_T5_T6_T7_T8_.has_recursion, 0
	.set _ZN2ck32kernel_gemm_xdlops_skip_b_lds_v1INS_48GridwiseGemm_k0mk1_k0nk1_mn_xdlops_skip_b_lds_v1ILi256EfffLNS_25InMemoryDataOperationEnumE0ENS_16TensorDescriptorINS_5TupleIJNS_5EmbedINS4_IJiiEEENS4_IJiNS_17integral_constantIiLi1EEEEEELb0EEENS_7UnMergeINS4_IJiNS7_IiLi4EEEEEELb0EEENS_11PassThroughIiEEEEENS4_IJNS_8SequenceIJLi0EEEENSI_IJLi2EEEENSI_IJLi1EEEEEEENS4_IJNSI_IJLi1ELi2EEEENSI_IJLi3ELi4EEEENSI_IJLi5EEEEEEENSI_IJLi3ELi5ELi4EEEElEENS3_INS4_IJNS5_IS6_NS4_IJS8_iEEELb0EEESE_SG_EEENS4_IJSJ_SL_SK_EEESQ_SR_lEENS3_INS4_IJSA_SG_SG_EEESW_NS4_IJSN_NSI_IJLi3EEEENSI_IJLi4EEEEEEESO_lEENS_16tensor_operation12element_wise11PassThroughES15_S15_Li16ELi128ELi4ELi16ELi16ELi4ELi1ELi2ENSI_IJLi16ELi16ELi1EEEENSI_IJLi1ELi0ELi2EEEES17_Li2ELi4ELi4ELb0ELb1ELi4ELb0ELi4ENSI_IJLi0ELi2ELi4ELi5ELi6ELi1ELi3ELi7EEEELi7ELi1EEEffSS_SX_S12_S15_S15_S15_NS_13TensorAdaptorINS4_IJNSB_IS6_Lb0EEES1B_NS_23Merge_v2_magic_divisionINS4_IJiiiiEEEEEEEENS4_IJSJ_SL_NSI_IJLi2ELi3ELi4ELi5EEEEEEENS4_IJNSI_IJLi2ELi4EEEENSI_IJLi3ELi5EEEENSI_IJLi6EEEEEEENSI_IJLi0ELi1EEEES1K_EELb1EEEvPKT0_S1Q_PT1_T2_T3_T4_T5_T6_T7_T8_.has_indirect_call, 0
	.section	.AMDGPU.csdata,"",@progbits
; Kernel info:
; codeLenInByte = 4
; TotalNumSgprs: 4
; NumVgprs: 0
; ScratchSize: 0
; MemoryBound: 0
; FloatMode: 240
; IeeeMode: 1
; LDSByteSize: 0 bytes/workgroup (compile time only)
; SGPRBlocks: 0
; VGPRBlocks: 0
; NumSGPRsForWavesPerEU: 4
; NumVGPRsForWavesPerEU: 1
; Occupancy: 10
; WaveLimiterHint : 0
; COMPUTE_PGM_RSRC2:SCRATCH_EN: 0
; COMPUTE_PGM_RSRC2:USER_SGPR: 6
; COMPUTE_PGM_RSRC2:TRAP_HANDLER: 0
; COMPUTE_PGM_RSRC2:TGID_X_EN: 1
; COMPUTE_PGM_RSRC2:TGID_Y_EN: 0
; COMPUTE_PGM_RSRC2:TGID_Z_EN: 0
; COMPUTE_PGM_RSRC2:TIDIG_COMP_CNT: 0
	.section	.text._ZN2ck32kernel_gemm_xdlops_skip_b_lds_v1INS_48GridwiseGemm_k0mk1_k0nk1_mn_xdlops_skip_b_lds_v1ILi256EfffLNS_25InMemoryDataOperationEnumE0ENS_16TensorDescriptorINS_5TupleIJNS_5EmbedINS4_IJiiEEENS4_IJiNS_17integral_constantIiLi1EEEEEELb0EEENS_7UnMergeINS4_IJiNS7_IiLi4EEEEEELb0EEENS_11PassThroughIiEEEEENS4_IJNS_8SequenceIJLi0EEEENSI_IJLi2EEEENSI_IJLi1EEEEEEENS4_IJNSI_IJLi1ELi2EEEENSI_IJLi3ELi4EEEENSI_IJLi5EEEEEEENSI_IJLi3ELi5ELi4EEEElEENS3_INS4_IJNS5_IS6_NS4_IJS8_iEEELb0EEESE_SG_EEENS4_IJSJ_SL_SK_EEESQ_SR_lEENS3_INS4_IJSA_SG_SG_EEESW_NS4_IJSN_NSI_IJLi3EEEENSI_IJLi4EEEEEEESO_lEENS_16tensor_operation12element_wise11PassThroughES15_S15_Li16ELi128ELi4ELi16ELi16ELi4ELi1ELi2ENSI_IJLi16ELi16ELi1EEEENSI_IJLi1ELi0ELi2EEEES17_Li2ELi4ELi4ELb0ELb1ELi4ELb0ELi4ENSI_IJLi0ELi2ELi4ELi5ELi6ELi1ELi3ELi7EEEELi7ELi1EEEffSS_SX_S12_S15_S15_S15_NS_13TensorAdaptorINS4_IJNSB_IS6_Lb0EEES1B_NS_23Merge_v2_magic_divisionINS4_IJiiiiEEEEEEEENS4_IJSJ_SL_NSI_IJLi2ELi3ELi4ELi5EEEEEEENS4_IJNSI_IJLi2ELi4EEEENSI_IJLi3ELi5EEEENSI_IJLi6EEEEEEENSI_IJLi0ELi1EEEES1K_EELb0EEEvPKT0_S1Q_PT1_T2_T3_T4_T5_T6_T7_T8_,"axG",@progbits,_ZN2ck32kernel_gemm_xdlops_skip_b_lds_v1INS_48GridwiseGemm_k0mk1_k0nk1_mn_xdlops_skip_b_lds_v1ILi256EfffLNS_25InMemoryDataOperationEnumE0ENS_16TensorDescriptorINS_5TupleIJNS_5EmbedINS4_IJiiEEENS4_IJiNS_17integral_constantIiLi1EEEEEELb0EEENS_7UnMergeINS4_IJiNS7_IiLi4EEEEEELb0EEENS_11PassThroughIiEEEEENS4_IJNS_8SequenceIJLi0EEEENSI_IJLi2EEEENSI_IJLi1EEEEEEENS4_IJNSI_IJLi1ELi2EEEENSI_IJLi3ELi4EEEENSI_IJLi5EEEEEEENSI_IJLi3ELi5ELi4EEEElEENS3_INS4_IJNS5_IS6_NS4_IJS8_iEEELb0EEESE_SG_EEENS4_IJSJ_SL_SK_EEESQ_SR_lEENS3_INS4_IJSA_SG_SG_EEESW_NS4_IJSN_NSI_IJLi3EEEENSI_IJLi4EEEEEEESO_lEENS_16tensor_operation12element_wise11PassThroughES15_S15_Li16ELi128ELi4ELi16ELi16ELi4ELi1ELi2ENSI_IJLi16ELi16ELi1EEEENSI_IJLi1ELi0ELi2EEEES17_Li2ELi4ELi4ELb0ELb1ELi4ELb0ELi4ENSI_IJLi0ELi2ELi4ELi5ELi6ELi1ELi3ELi7EEEELi7ELi1EEEffSS_SX_S12_S15_S15_S15_NS_13TensorAdaptorINS4_IJNSB_IS6_Lb0EEES1B_NS_23Merge_v2_magic_divisionINS4_IJiiiiEEEEEEEENS4_IJSJ_SL_NSI_IJLi2ELi3ELi4ELi5EEEEEEENS4_IJNSI_IJLi2ELi4EEEENSI_IJLi3ELi5EEEENSI_IJLi6EEEEEEENSI_IJLi0ELi1EEEES1K_EELb0EEEvPKT0_S1Q_PT1_T2_T3_T4_T5_T6_T7_T8_,comdat
	.protected	_ZN2ck32kernel_gemm_xdlops_skip_b_lds_v1INS_48GridwiseGemm_k0mk1_k0nk1_mn_xdlops_skip_b_lds_v1ILi256EfffLNS_25InMemoryDataOperationEnumE0ENS_16TensorDescriptorINS_5TupleIJNS_5EmbedINS4_IJiiEEENS4_IJiNS_17integral_constantIiLi1EEEEEELb0EEENS_7UnMergeINS4_IJiNS7_IiLi4EEEEEELb0EEENS_11PassThroughIiEEEEENS4_IJNS_8SequenceIJLi0EEEENSI_IJLi2EEEENSI_IJLi1EEEEEEENS4_IJNSI_IJLi1ELi2EEEENSI_IJLi3ELi4EEEENSI_IJLi5EEEEEEENSI_IJLi3ELi5ELi4EEEElEENS3_INS4_IJNS5_IS6_NS4_IJS8_iEEELb0EEESE_SG_EEENS4_IJSJ_SL_SK_EEESQ_SR_lEENS3_INS4_IJSA_SG_SG_EEESW_NS4_IJSN_NSI_IJLi3EEEENSI_IJLi4EEEEEEESO_lEENS_16tensor_operation12element_wise11PassThroughES15_S15_Li16ELi128ELi4ELi16ELi16ELi4ELi1ELi2ENSI_IJLi16ELi16ELi1EEEENSI_IJLi1ELi0ELi2EEEES17_Li2ELi4ELi4ELb0ELb1ELi4ELb0ELi4ENSI_IJLi0ELi2ELi4ELi5ELi6ELi1ELi3ELi7EEEELi7ELi1EEEffSS_SX_S12_S15_S15_S15_NS_13TensorAdaptorINS4_IJNSB_IS6_Lb0EEES1B_NS_23Merge_v2_magic_divisionINS4_IJiiiiEEEEEEEENS4_IJSJ_SL_NSI_IJLi2ELi3ELi4ELi5EEEEEEENS4_IJNSI_IJLi2ELi4EEEENSI_IJLi3ELi5EEEENSI_IJLi6EEEEEEENSI_IJLi0ELi1EEEES1K_EELb0EEEvPKT0_S1Q_PT1_T2_T3_T4_T5_T6_T7_T8_ ; -- Begin function _ZN2ck32kernel_gemm_xdlops_skip_b_lds_v1INS_48GridwiseGemm_k0mk1_k0nk1_mn_xdlops_skip_b_lds_v1ILi256EfffLNS_25InMemoryDataOperationEnumE0ENS_16TensorDescriptorINS_5TupleIJNS_5EmbedINS4_IJiiEEENS4_IJiNS_17integral_constantIiLi1EEEEEELb0EEENS_7UnMergeINS4_IJiNS7_IiLi4EEEEEELb0EEENS_11PassThroughIiEEEEENS4_IJNS_8SequenceIJLi0EEEENSI_IJLi2EEEENSI_IJLi1EEEEEEENS4_IJNSI_IJLi1ELi2EEEENSI_IJLi3ELi4EEEENSI_IJLi5EEEEEEENSI_IJLi3ELi5ELi4EEEElEENS3_INS4_IJNS5_IS6_NS4_IJS8_iEEELb0EEESE_SG_EEENS4_IJSJ_SL_SK_EEESQ_SR_lEENS3_INS4_IJSA_SG_SG_EEESW_NS4_IJSN_NSI_IJLi3EEEENSI_IJLi4EEEEEEESO_lEENS_16tensor_operation12element_wise11PassThroughES15_S15_Li16ELi128ELi4ELi16ELi16ELi4ELi1ELi2ENSI_IJLi16ELi16ELi1EEEENSI_IJLi1ELi0ELi2EEEES17_Li2ELi4ELi4ELb0ELb1ELi4ELb0ELi4ENSI_IJLi0ELi2ELi4ELi5ELi6ELi1ELi3ELi7EEEELi7ELi1EEEffSS_SX_S12_S15_S15_S15_NS_13TensorAdaptorINS4_IJNSB_IS6_Lb0EEES1B_NS_23Merge_v2_magic_divisionINS4_IJiiiiEEEEEEEENS4_IJSJ_SL_NSI_IJLi2ELi3ELi4ELi5EEEEEEENS4_IJNSI_IJLi2ELi4EEEENSI_IJLi3ELi5EEEENSI_IJLi6EEEEEEENSI_IJLi0ELi1EEEES1K_EELb0EEEvPKT0_S1Q_PT1_T2_T3_T4_T5_T6_T7_T8_
	.globl	_ZN2ck32kernel_gemm_xdlops_skip_b_lds_v1INS_48GridwiseGemm_k0mk1_k0nk1_mn_xdlops_skip_b_lds_v1ILi256EfffLNS_25InMemoryDataOperationEnumE0ENS_16TensorDescriptorINS_5TupleIJNS_5EmbedINS4_IJiiEEENS4_IJiNS_17integral_constantIiLi1EEEEEELb0EEENS_7UnMergeINS4_IJiNS7_IiLi4EEEEEELb0EEENS_11PassThroughIiEEEEENS4_IJNS_8SequenceIJLi0EEEENSI_IJLi2EEEENSI_IJLi1EEEEEEENS4_IJNSI_IJLi1ELi2EEEENSI_IJLi3ELi4EEEENSI_IJLi5EEEEEEENSI_IJLi3ELi5ELi4EEEElEENS3_INS4_IJNS5_IS6_NS4_IJS8_iEEELb0EEESE_SG_EEENS4_IJSJ_SL_SK_EEESQ_SR_lEENS3_INS4_IJSA_SG_SG_EEESW_NS4_IJSN_NSI_IJLi3EEEENSI_IJLi4EEEEEEESO_lEENS_16tensor_operation12element_wise11PassThroughES15_S15_Li16ELi128ELi4ELi16ELi16ELi4ELi1ELi2ENSI_IJLi16ELi16ELi1EEEENSI_IJLi1ELi0ELi2EEEES17_Li2ELi4ELi4ELb0ELb1ELi4ELb0ELi4ENSI_IJLi0ELi2ELi4ELi5ELi6ELi1ELi3ELi7EEEELi7ELi1EEEffSS_SX_S12_S15_S15_S15_NS_13TensorAdaptorINS4_IJNSB_IS6_Lb0EEES1B_NS_23Merge_v2_magic_divisionINS4_IJiiiiEEEEEEEENS4_IJSJ_SL_NSI_IJLi2ELi3ELi4ELi5EEEEEEENS4_IJNSI_IJLi2ELi4EEEENSI_IJLi3ELi5EEEENSI_IJLi6EEEEEEENSI_IJLi0ELi1EEEES1K_EELb0EEEvPKT0_S1Q_PT1_T2_T3_T4_T5_T6_T7_T8_
	.p2align	8
	.type	_ZN2ck32kernel_gemm_xdlops_skip_b_lds_v1INS_48GridwiseGemm_k0mk1_k0nk1_mn_xdlops_skip_b_lds_v1ILi256EfffLNS_25InMemoryDataOperationEnumE0ENS_16TensorDescriptorINS_5TupleIJNS_5EmbedINS4_IJiiEEENS4_IJiNS_17integral_constantIiLi1EEEEEELb0EEENS_7UnMergeINS4_IJiNS7_IiLi4EEEEEELb0EEENS_11PassThroughIiEEEEENS4_IJNS_8SequenceIJLi0EEEENSI_IJLi2EEEENSI_IJLi1EEEEEEENS4_IJNSI_IJLi1ELi2EEEENSI_IJLi3ELi4EEEENSI_IJLi5EEEEEEENSI_IJLi3ELi5ELi4EEEElEENS3_INS4_IJNS5_IS6_NS4_IJS8_iEEELb0EEESE_SG_EEENS4_IJSJ_SL_SK_EEESQ_SR_lEENS3_INS4_IJSA_SG_SG_EEESW_NS4_IJSN_NSI_IJLi3EEEENSI_IJLi4EEEEEEESO_lEENS_16tensor_operation12element_wise11PassThroughES15_S15_Li16ELi128ELi4ELi16ELi16ELi4ELi1ELi2ENSI_IJLi16ELi16ELi1EEEENSI_IJLi1ELi0ELi2EEEES17_Li2ELi4ELi4ELb0ELb1ELi4ELb0ELi4ENSI_IJLi0ELi2ELi4ELi5ELi6ELi1ELi3ELi7EEEELi7ELi1EEEffSS_SX_S12_S15_S15_S15_NS_13TensorAdaptorINS4_IJNSB_IS6_Lb0EEES1B_NS_23Merge_v2_magic_divisionINS4_IJiiiiEEEEEEEENS4_IJSJ_SL_NSI_IJLi2ELi3ELi4ELi5EEEEEEENS4_IJNSI_IJLi2ELi4EEEENSI_IJLi3ELi5EEEENSI_IJLi6EEEEEEENSI_IJLi0ELi1EEEES1K_EELb0EEEvPKT0_S1Q_PT1_T2_T3_T4_T5_T6_T7_T8_,@function
_ZN2ck32kernel_gemm_xdlops_skip_b_lds_v1INS_48GridwiseGemm_k0mk1_k0nk1_mn_xdlops_skip_b_lds_v1ILi256EfffLNS_25InMemoryDataOperationEnumE0ENS_16TensorDescriptorINS_5TupleIJNS_5EmbedINS4_IJiiEEENS4_IJiNS_17integral_constantIiLi1EEEEEELb0EEENS_7UnMergeINS4_IJiNS7_IiLi4EEEEEELb0EEENS_11PassThroughIiEEEEENS4_IJNS_8SequenceIJLi0EEEENSI_IJLi2EEEENSI_IJLi1EEEEEEENS4_IJNSI_IJLi1ELi2EEEENSI_IJLi3ELi4EEEENSI_IJLi5EEEEEEENSI_IJLi3ELi5ELi4EEEElEENS3_INS4_IJNS5_IS6_NS4_IJS8_iEEELb0EEESE_SG_EEENS4_IJSJ_SL_SK_EEESQ_SR_lEENS3_INS4_IJSA_SG_SG_EEESW_NS4_IJSN_NSI_IJLi3EEEENSI_IJLi4EEEEEEESO_lEENS_16tensor_operation12element_wise11PassThroughES15_S15_Li16ELi128ELi4ELi16ELi16ELi4ELi1ELi2ENSI_IJLi16ELi16ELi1EEEENSI_IJLi1ELi0ELi2EEEES17_Li2ELi4ELi4ELb0ELb1ELi4ELb0ELi4ENSI_IJLi0ELi2ELi4ELi5ELi6ELi1ELi3ELi7EEEELi7ELi1EEEffSS_SX_S12_S15_S15_S15_NS_13TensorAdaptorINS4_IJNSB_IS6_Lb0EEES1B_NS_23Merge_v2_magic_divisionINS4_IJiiiiEEEEEEEENS4_IJSJ_SL_NSI_IJLi2ELi3ELi4ELi5EEEEEEENS4_IJNSI_IJLi2ELi4EEEENSI_IJLi3ELi5EEEENSI_IJLi6EEEEEEENSI_IJLi0ELi1EEEES1K_EELb0EEEvPKT0_S1Q_PT1_T2_T3_T4_T5_T6_T7_T8_: ; @_ZN2ck32kernel_gemm_xdlops_skip_b_lds_v1INS_48GridwiseGemm_k0mk1_k0nk1_mn_xdlops_skip_b_lds_v1ILi256EfffLNS_25InMemoryDataOperationEnumE0ENS_16TensorDescriptorINS_5TupleIJNS_5EmbedINS4_IJiiEEENS4_IJiNS_17integral_constantIiLi1EEEEEELb0EEENS_7UnMergeINS4_IJiNS7_IiLi4EEEEEELb0EEENS_11PassThroughIiEEEEENS4_IJNS_8SequenceIJLi0EEEENSI_IJLi2EEEENSI_IJLi1EEEEEEENS4_IJNSI_IJLi1ELi2EEEENSI_IJLi3ELi4EEEENSI_IJLi5EEEEEEENSI_IJLi3ELi5ELi4EEEElEENS3_INS4_IJNS5_IS6_NS4_IJS8_iEEELb0EEESE_SG_EEENS4_IJSJ_SL_SK_EEESQ_SR_lEENS3_INS4_IJSA_SG_SG_EEESW_NS4_IJSN_NSI_IJLi3EEEENSI_IJLi4EEEEEEESO_lEENS_16tensor_operation12element_wise11PassThroughES15_S15_Li16ELi128ELi4ELi16ELi16ELi4ELi1ELi2ENSI_IJLi16ELi16ELi1EEEENSI_IJLi1ELi0ELi2EEEES17_Li2ELi4ELi4ELb0ELb1ELi4ELb0ELi4ENSI_IJLi0ELi2ELi4ELi5ELi6ELi1ELi3ELi7EEEELi7ELi1EEEffSS_SX_S12_S15_S15_S15_NS_13TensorAdaptorINS4_IJNSB_IS6_Lb0EEES1B_NS_23Merge_v2_magic_divisionINS4_IJiiiiEEEEEEEENS4_IJSJ_SL_NSI_IJLi2ELi3ELi4ELi5EEEEEEENS4_IJNSI_IJLi2ELi4EEEENSI_IJLi3ELi5EEEENSI_IJLi6EEEEEEENSI_IJLi0ELi1EEEES1K_EELb0EEEvPKT0_S1Q_PT1_T2_T3_T4_T5_T6_T7_T8_
; %bb.0:
	s_endpgm
	.section	.rodata,"a",@progbits
	.p2align	6, 0x0
	.amdhsa_kernel _ZN2ck32kernel_gemm_xdlops_skip_b_lds_v1INS_48GridwiseGemm_k0mk1_k0nk1_mn_xdlops_skip_b_lds_v1ILi256EfffLNS_25InMemoryDataOperationEnumE0ENS_16TensorDescriptorINS_5TupleIJNS_5EmbedINS4_IJiiEEENS4_IJiNS_17integral_constantIiLi1EEEEEELb0EEENS_7UnMergeINS4_IJiNS7_IiLi4EEEEEELb0EEENS_11PassThroughIiEEEEENS4_IJNS_8SequenceIJLi0EEEENSI_IJLi2EEEENSI_IJLi1EEEEEEENS4_IJNSI_IJLi1ELi2EEEENSI_IJLi3ELi4EEEENSI_IJLi5EEEEEEENSI_IJLi3ELi5ELi4EEEElEENS3_INS4_IJNS5_IS6_NS4_IJS8_iEEELb0EEESE_SG_EEENS4_IJSJ_SL_SK_EEESQ_SR_lEENS3_INS4_IJSA_SG_SG_EEESW_NS4_IJSN_NSI_IJLi3EEEENSI_IJLi4EEEEEEESO_lEENS_16tensor_operation12element_wise11PassThroughES15_S15_Li16ELi128ELi4ELi16ELi16ELi4ELi1ELi2ENSI_IJLi16ELi16ELi1EEEENSI_IJLi1ELi0ELi2EEEES17_Li2ELi4ELi4ELb0ELb1ELi4ELb0ELi4ENSI_IJLi0ELi2ELi4ELi5ELi6ELi1ELi3ELi7EEEELi7ELi1EEEffSS_SX_S12_S15_S15_S15_NS_13TensorAdaptorINS4_IJNSB_IS6_Lb0EEES1B_NS_23Merge_v2_magic_divisionINS4_IJiiiiEEEEEEEENS4_IJSJ_SL_NSI_IJLi2ELi3ELi4ELi5EEEEEEENS4_IJNSI_IJLi2ELi4EEEENSI_IJLi3ELi5EEEENSI_IJLi6EEEEEEENSI_IJLi0ELi1EEEES1K_EELb0EEEvPKT0_S1Q_PT1_T2_T3_T4_T5_T6_T7_T8_
		.amdhsa_group_segment_fixed_size 0
		.amdhsa_private_segment_fixed_size 0
		.amdhsa_kernarg_size 252
		.amdhsa_user_sgpr_count 6
		.amdhsa_user_sgpr_private_segment_buffer 1
		.amdhsa_user_sgpr_dispatch_ptr 0
		.amdhsa_user_sgpr_queue_ptr 0
		.amdhsa_user_sgpr_kernarg_segment_ptr 1
		.amdhsa_user_sgpr_dispatch_id 0
		.amdhsa_user_sgpr_flat_scratch_init 0
		.amdhsa_user_sgpr_private_segment_size 0
		.amdhsa_uses_dynamic_stack 0
		.amdhsa_system_sgpr_private_segment_wavefront_offset 0
		.amdhsa_system_sgpr_workgroup_id_x 1
		.amdhsa_system_sgpr_workgroup_id_y 0
		.amdhsa_system_sgpr_workgroup_id_z 0
		.amdhsa_system_sgpr_workgroup_info 0
		.amdhsa_system_vgpr_workitem_id 0
		.amdhsa_next_free_vgpr 1
		.amdhsa_next_free_sgpr 0
		.amdhsa_reserve_vcc 0
		.amdhsa_reserve_flat_scratch 0
		.amdhsa_float_round_mode_32 0
		.amdhsa_float_round_mode_16_64 0
		.amdhsa_float_denorm_mode_32 3
		.amdhsa_float_denorm_mode_16_64 3
		.amdhsa_dx10_clamp 1
		.amdhsa_ieee_mode 1
		.amdhsa_fp16_overflow 0
		.amdhsa_exception_fp_ieee_invalid_op 0
		.amdhsa_exception_fp_denorm_src 0
		.amdhsa_exception_fp_ieee_div_zero 0
		.amdhsa_exception_fp_ieee_overflow 0
		.amdhsa_exception_fp_ieee_underflow 0
		.amdhsa_exception_fp_ieee_inexact 0
		.amdhsa_exception_int_div_zero 0
	.end_amdhsa_kernel
	.section	.text._ZN2ck32kernel_gemm_xdlops_skip_b_lds_v1INS_48GridwiseGemm_k0mk1_k0nk1_mn_xdlops_skip_b_lds_v1ILi256EfffLNS_25InMemoryDataOperationEnumE0ENS_16TensorDescriptorINS_5TupleIJNS_5EmbedINS4_IJiiEEENS4_IJiNS_17integral_constantIiLi1EEEEEELb0EEENS_7UnMergeINS4_IJiNS7_IiLi4EEEEEELb0EEENS_11PassThroughIiEEEEENS4_IJNS_8SequenceIJLi0EEEENSI_IJLi2EEEENSI_IJLi1EEEEEEENS4_IJNSI_IJLi1ELi2EEEENSI_IJLi3ELi4EEEENSI_IJLi5EEEEEEENSI_IJLi3ELi5ELi4EEEElEENS3_INS4_IJNS5_IS6_NS4_IJS8_iEEELb0EEESE_SG_EEENS4_IJSJ_SL_SK_EEESQ_SR_lEENS3_INS4_IJSA_SG_SG_EEESW_NS4_IJSN_NSI_IJLi3EEEENSI_IJLi4EEEEEEESO_lEENS_16tensor_operation12element_wise11PassThroughES15_S15_Li16ELi128ELi4ELi16ELi16ELi4ELi1ELi2ENSI_IJLi16ELi16ELi1EEEENSI_IJLi1ELi0ELi2EEEES17_Li2ELi4ELi4ELb0ELb1ELi4ELb0ELi4ENSI_IJLi0ELi2ELi4ELi5ELi6ELi1ELi3ELi7EEEELi7ELi1EEEffSS_SX_S12_S15_S15_S15_NS_13TensorAdaptorINS4_IJNSB_IS6_Lb0EEES1B_NS_23Merge_v2_magic_divisionINS4_IJiiiiEEEEEEEENS4_IJSJ_SL_NSI_IJLi2ELi3ELi4ELi5EEEEEEENS4_IJNSI_IJLi2ELi4EEEENSI_IJLi3ELi5EEEENSI_IJLi6EEEEEEENSI_IJLi0ELi1EEEES1K_EELb0EEEvPKT0_S1Q_PT1_T2_T3_T4_T5_T6_T7_T8_,"axG",@progbits,_ZN2ck32kernel_gemm_xdlops_skip_b_lds_v1INS_48GridwiseGemm_k0mk1_k0nk1_mn_xdlops_skip_b_lds_v1ILi256EfffLNS_25InMemoryDataOperationEnumE0ENS_16TensorDescriptorINS_5TupleIJNS_5EmbedINS4_IJiiEEENS4_IJiNS_17integral_constantIiLi1EEEEEELb0EEENS_7UnMergeINS4_IJiNS7_IiLi4EEEEEELb0EEENS_11PassThroughIiEEEEENS4_IJNS_8SequenceIJLi0EEEENSI_IJLi2EEEENSI_IJLi1EEEEEEENS4_IJNSI_IJLi1ELi2EEEENSI_IJLi3ELi4EEEENSI_IJLi5EEEEEEENSI_IJLi3ELi5ELi4EEEElEENS3_INS4_IJNS5_IS6_NS4_IJS8_iEEELb0EEESE_SG_EEENS4_IJSJ_SL_SK_EEESQ_SR_lEENS3_INS4_IJSA_SG_SG_EEESW_NS4_IJSN_NSI_IJLi3EEEENSI_IJLi4EEEEEEESO_lEENS_16tensor_operation12element_wise11PassThroughES15_S15_Li16ELi128ELi4ELi16ELi16ELi4ELi1ELi2ENSI_IJLi16ELi16ELi1EEEENSI_IJLi1ELi0ELi2EEEES17_Li2ELi4ELi4ELb0ELb1ELi4ELb0ELi4ENSI_IJLi0ELi2ELi4ELi5ELi6ELi1ELi3ELi7EEEELi7ELi1EEEffSS_SX_S12_S15_S15_S15_NS_13TensorAdaptorINS4_IJNSB_IS6_Lb0EEES1B_NS_23Merge_v2_magic_divisionINS4_IJiiiiEEEEEEEENS4_IJSJ_SL_NSI_IJLi2ELi3ELi4ELi5EEEEEEENS4_IJNSI_IJLi2ELi4EEEENSI_IJLi3ELi5EEEENSI_IJLi6EEEEEEENSI_IJLi0ELi1EEEES1K_EELb0EEEvPKT0_S1Q_PT1_T2_T3_T4_T5_T6_T7_T8_,comdat
.Lfunc_end2:
	.size	_ZN2ck32kernel_gemm_xdlops_skip_b_lds_v1INS_48GridwiseGemm_k0mk1_k0nk1_mn_xdlops_skip_b_lds_v1ILi256EfffLNS_25InMemoryDataOperationEnumE0ENS_16TensorDescriptorINS_5TupleIJNS_5EmbedINS4_IJiiEEENS4_IJiNS_17integral_constantIiLi1EEEEEELb0EEENS_7UnMergeINS4_IJiNS7_IiLi4EEEEEELb0EEENS_11PassThroughIiEEEEENS4_IJNS_8SequenceIJLi0EEEENSI_IJLi2EEEENSI_IJLi1EEEEEEENS4_IJNSI_IJLi1ELi2EEEENSI_IJLi3ELi4EEEENSI_IJLi5EEEEEEENSI_IJLi3ELi5ELi4EEEElEENS3_INS4_IJNS5_IS6_NS4_IJS8_iEEELb0EEESE_SG_EEENS4_IJSJ_SL_SK_EEESQ_SR_lEENS3_INS4_IJSA_SG_SG_EEESW_NS4_IJSN_NSI_IJLi3EEEENSI_IJLi4EEEEEEESO_lEENS_16tensor_operation12element_wise11PassThroughES15_S15_Li16ELi128ELi4ELi16ELi16ELi4ELi1ELi2ENSI_IJLi16ELi16ELi1EEEENSI_IJLi1ELi0ELi2EEEES17_Li2ELi4ELi4ELb0ELb1ELi4ELb0ELi4ENSI_IJLi0ELi2ELi4ELi5ELi6ELi1ELi3ELi7EEEELi7ELi1EEEffSS_SX_S12_S15_S15_S15_NS_13TensorAdaptorINS4_IJNSB_IS6_Lb0EEES1B_NS_23Merge_v2_magic_divisionINS4_IJiiiiEEEEEEEENS4_IJSJ_SL_NSI_IJLi2ELi3ELi4ELi5EEEEEEENS4_IJNSI_IJLi2ELi4EEEENSI_IJLi3ELi5EEEENSI_IJLi6EEEEEEENSI_IJLi0ELi1EEEES1K_EELb0EEEvPKT0_S1Q_PT1_T2_T3_T4_T5_T6_T7_T8_, .Lfunc_end2-_ZN2ck32kernel_gemm_xdlops_skip_b_lds_v1INS_48GridwiseGemm_k0mk1_k0nk1_mn_xdlops_skip_b_lds_v1ILi256EfffLNS_25InMemoryDataOperationEnumE0ENS_16TensorDescriptorINS_5TupleIJNS_5EmbedINS4_IJiiEEENS4_IJiNS_17integral_constantIiLi1EEEEEELb0EEENS_7UnMergeINS4_IJiNS7_IiLi4EEEEEELb0EEENS_11PassThroughIiEEEEENS4_IJNS_8SequenceIJLi0EEEENSI_IJLi2EEEENSI_IJLi1EEEEEEENS4_IJNSI_IJLi1ELi2EEEENSI_IJLi3ELi4EEEENSI_IJLi5EEEEEEENSI_IJLi3ELi5ELi4EEEElEENS3_INS4_IJNS5_IS6_NS4_IJS8_iEEELb0EEESE_SG_EEENS4_IJSJ_SL_SK_EEESQ_SR_lEENS3_INS4_IJSA_SG_SG_EEESW_NS4_IJSN_NSI_IJLi3EEEENSI_IJLi4EEEEEEESO_lEENS_16tensor_operation12element_wise11PassThroughES15_S15_Li16ELi128ELi4ELi16ELi16ELi4ELi1ELi2ENSI_IJLi16ELi16ELi1EEEENSI_IJLi1ELi0ELi2EEEES17_Li2ELi4ELi4ELb0ELb1ELi4ELb0ELi4ENSI_IJLi0ELi2ELi4ELi5ELi6ELi1ELi3ELi7EEEELi7ELi1EEEffSS_SX_S12_S15_S15_S15_NS_13TensorAdaptorINS4_IJNSB_IS6_Lb0EEES1B_NS_23Merge_v2_magic_divisionINS4_IJiiiiEEEEEEEENS4_IJSJ_SL_NSI_IJLi2ELi3ELi4ELi5EEEEEEENS4_IJNSI_IJLi2ELi4EEEENSI_IJLi3ELi5EEEENSI_IJLi6EEEEEEENSI_IJLi0ELi1EEEES1K_EELb0EEEvPKT0_S1Q_PT1_T2_T3_T4_T5_T6_T7_T8_
                                        ; -- End function
	.set _ZN2ck32kernel_gemm_xdlops_skip_b_lds_v1INS_48GridwiseGemm_k0mk1_k0nk1_mn_xdlops_skip_b_lds_v1ILi256EfffLNS_25InMemoryDataOperationEnumE0ENS_16TensorDescriptorINS_5TupleIJNS_5EmbedINS4_IJiiEEENS4_IJiNS_17integral_constantIiLi1EEEEEELb0EEENS_7UnMergeINS4_IJiNS7_IiLi4EEEEEELb0EEENS_11PassThroughIiEEEEENS4_IJNS_8SequenceIJLi0EEEENSI_IJLi2EEEENSI_IJLi1EEEEEEENS4_IJNSI_IJLi1ELi2EEEENSI_IJLi3ELi4EEEENSI_IJLi5EEEEEEENSI_IJLi3ELi5ELi4EEEElEENS3_INS4_IJNS5_IS6_NS4_IJS8_iEEELb0EEESE_SG_EEENS4_IJSJ_SL_SK_EEESQ_SR_lEENS3_INS4_IJSA_SG_SG_EEESW_NS4_IJSN_NSI_IJLi3EEEENSI_IJLi4EEEEEEESO_lEENS_16tensor_operation12element_wise11PassThroughES15_S15_Li16ELi128ELi4ELi16ELi16ELi4ELi1ELi2ENSI_IJLi16ELi16ELi1EEEENSI_IJLi1ELi0ELi2EEEES17_Li2ELi4ELi4ELb0ELb1ELi4ELb0ELi4ENSI_IJLi0ELi2ELi4ELi5ELi6ELi1ELi3ELi7EEEELi7ELi1EEEffSS_SX_S12_S15_S15_S15_NS_13TensorAdaptorINS4_IJNSB_IS6_Lb0EEES1B_NS_23Merge_v2_magic_divisionINS4_IJiiiiEEEEEEEENS4_IJSJ_SL_NSI_IJLi2ELi3ELi4ELi5EEEEEEENS4_IJNSI_IJLi2ELi4EEEENSI_IJLi3ELi5EEEENSI_IJLi6EEEEEEENSI_IJLi0ELi1EEEES1K_EELb0EEEvPKT0_S1Q_PT1_T2_T3_T4_T5_T6_T7_T8_.num_vgpr, 0
	.set _ZN2ck32kernel_gemm_xdlops_skip_b_lds_v1INS_48GridwiseGemm_k0mk1_k0nk1_mn_xdlops_skip_b_lds_v1ILi256EfffLNS_25InMemoryDataOperationEnumE0ENS_16TensorDescriptorINS_5TupleIJNS_5EmbedINS4_IJiiEEENS4_IJiNS_17integral_constantIiLi1EEEEEELb0EEENS_7UnMergeINS4_IJiNS7_IiLi4EEEEEELb0EEENS_11PassThroughIiEEEEENS4_IJNS_8SequenceIJLi0EEEENSI_IJLi2EEEENSI_IJLi1EEEEEEENS4_IJNSI_IJLi1ELi2EEEENSI_IJLi3ELi4EEEENSI_IJLi5EEEEEEENSI_IJLi3ELi5ELi4EEEElEENS3_INS4_IJNS5_IS6_NS4_IJS8_iEEELb0EEESE_SG_EEENS4_IJSJ_SL_SK_EEESQ_SR_lEENS3_INS4_IJSA_SG_SG_EEESW_NS4_IJSN_NSI_IJLi3EEEENSI_IJLi4EEEEEEESO_lEENS_16tensor_operation12element_wise11PassThroughES15_S15_Li16ELi128ELi4ELi16ELi16ELi4ELi1ELi2ENSI_IJLi16ELi16ELi1EEEENSI_IJLi1ELi0ELi2EEEES17_Li2ELi4ELi4ELb0ELb1ELi4ELb0ELi4ENSI_IJLi0ELi2ELi4ELi5ELi6ELi1ELi3ELi7EEEELi7ELi1EEEffSS_SX_S12_S15_S15_S15_NS_13TensorAdaptorINS4_IJNSB_IS6_Lb0EEES1B_NS_23Merge_v2_magic_divisionINS4_IJiiiiEEEEEEEENS4_IJSJ_SL_NSI_IJLi2ELi3ELi4ELi5EEEEEEENS4_IJNSI_IJLi2ELi4EEEENSI_IJLi3ELi5EEEENSI_IJLi6EEEEEEENSI_IJLi0ELi1EEEES1K_EELb0EEEvPKT0_S1Q_PT1_T2_T3_T4_T5_T6_T7_T8_.num_agpr, 0
	.set _ZN2ck32kernel_gemm_xdlops_skip_b_lds_v1INS_48GridwiseGemm_k0mk1_k0nk1_mn_xdlops_skip_b_lds_v1ILi256EfffLNS_25InMemoryDataOperationEnumE0ENS_16TensorDescriptorINS_5TupleIJNS_5EmbedINS4_IJiiEEENS4_IJiNS_17integral_constantIiLi1EEEEEELb0EEENS_7UnMergeINS4_IJiNS7_IiLi4EEEEEELb0EEENS_11PassThroughIiEEEEENS4_IJNS_8SequenceIJLi0EEEENSI_IJLi2EEEENSI_IJLi1EEEEEEENS4_IJNSI_IJLi1ELi2EEEENSI_IJLi3ELi4EEEENSI_IJLi5EEEEEEENSI_IJLi3ELi5ELi4EEEElEENS3_INS4_IJNS5_IS6_NS4_IJS8_iEEELb0EEESE_SG_EEENS4_IJSJ_SL_SK_EEESQ_SR_lEENS3_INS4_IJSA_SG_SG_EEESW_NS4_IJSN_NSI_IJLi3EEEENSI_IJLi4EEEEEEESO_lEENS_16tensor_operation12element_wise11PassThroughES15_S15_Li16ELi128ELi4ELi16ELi16ELi4ELi1ELi2ENSI_IJLi16ELi16ELi1EEEENSI_IJLi1ELi0ELi2EEEES17_Li2ELi4ELi4ELb0ELb1ELi4ELb0ELi4ENSI_IJLi0ELi2ELi4ELi5ELi6ELi1ELi3ELi7EEEELi7ELi1EEEffSS_SX_S12_S15_S15_S15_NS_13TensorAdaptorINS4_IJNSB_IS6_Lb0EEES1B_NS_23Merge_v2_magic_divisionINS4_IJiiiiEEEEEEEENS4_IJSJ_SL_NSI_IJLi2ELi3ELi4ELi5EEEEEEENS4_IJNSI_IJLi2ELi4EEEENSI_IJLi3ELi5EEEENSI_IJLi6EEEEEEENSI_IJLi0ELi1EEEES1K_EELb0EEEvPKT0_S1Q_PT1_T2_T3_T4_T5_T6_T7_T8_.numbered_sgpr, 0
	.set _ZN2ck32kernel_gemm_xdlops_skip_b_lds_v1INS_48GridwiseGemm_k0mk1_k0nk1_mn_xdlops_skip_b_lds_v1ILi256EfffLNS_25InMemoryDataOperationEnumE0ENS_16TensorDescriptorINS_5TupleIJNS_5EmbedINS4_IJiiEEENS4_IJiNS_17integral_constantIiLi1EEEEEELb0EEENS_7UnMergeINS4_IJiNS7_IiLi4EEEEEELb0EEENS_11PassThroughIiEEEEENS4_IJNS_8SequenceIJLi0EEEENSI_IJLi2EEEENSI_IJLi1EEEEEEENS4_IJNSI_IJLi1ELi2EEEENSI_IJLi3ELi4EEEENSI_IJLi5EEEEEEENSI_IJLi3ELi5ELi4EEEElEENS3_INS4_IJNS5_IS6_NS4_IJS8_iEEELb0EEESE_SG_EEENS4_IJSJ_SL_SK_EEESQ_SR_lEENS3_INS4_IJSA_SG_SG_EEESW_NS4_IJSN_NSI_IJLi3EEEENSI_IJLi4EEEEEEESO_lEENS_16tensor_operation12element_wise11PassThroughES15_S15_Li16ELi128ELi4ELi16ELi16ELi4ELi1ELi2ENSI_IJLi16ELi16ELi1EEEENSI_IJLi1ELi0ELi2EEEES17_Li2ELi4ELi4ELb0ELb1ELi4ELb0ELi4ENSI_IJLi0ELi2ELi4ELi5ELi6ELi1ELi3ELi7EEEELi7ELi1EEEffSS_SX_S12_S15_S15_S15_NS_13TensorAdaptorINS4_IJNSB_IS6_Lb0EEES1B_NS_23Merge_v2_magic_divisionINS4_IJiiiiEEEEEEEENS4_IJSJ_SL_NSI_IJLi2ELi3ELi4ELi5EEEEEEENS4_IJNSI_IJLi2ELi4EEEENSI_IJLi3ELi5EEEENSI_IJLi6EEEEEEENSI_IJLi0ELi1EEEES1K_EELb0EEEvPKT0_S1Q_PT1_T2_T3_T4_T5_T6_T7_T8_.num_named_barrier, 0
	.set _ZN2ck32kernel_gemm_xdlops_skip_b_lds_v1INS_48GridwiseGemm_k0mk1_k0nk1_mn_xdlops_skip_b_lds_v1ILi256EfffLNS_25InMemoryDataOperationEnumE0ENS_16TensorDescriptorINS_5TupleIJNS_5EmbedINS4_IJiiEEENS4_IJiNS_17integral_constantIiLi1EEEEEELb0EEENS_7UnMergeINS4_IJiNS7_IiLi4EEEEEELb0EEENS_11PassThroughIiEEEEENS4_IJNS_8SequenceIJLi0EEEENSI_IJLi2EEEENSI_IJLi1EEEEEEENS4_IJNSI_IJLi1ELi2EEEENSI_IJLi3ELi4EEEENSI_IJLi5EEEEEEENSI_IJLi3ELi5ELi4EEEElEENS3_INS4_IJNS5_IS6_NS4_IJS8_iEEELb0EEESE_SG_EEENS4_IJSJ_SL_SK_EEESQ_SR_lEENS3_INS4_IJSA_SG_SG_EEESW_NS4_IJSN_NSI_IJLi3EEEENSI_IJLi4EEEEEEESO_lEENS_16tensor_operation12element_wise11PassThroughES15_S15_Li16ELi128ELi4ELi16ELi16ELi4ELi1ELi2ENSI_IJLi16ELi16ELi1EEEENSI_IJLi1ELi0ELi2EEEES17_Li2ELi4ELi4ELb0ELb1ELi4ELb0ELi4ENSI_IJLi0ELi2ELi4ELi5ELi6ELi1ELi3ELi7EEEELi7ELi1EEEffSS_SX_S12_S15_S15_S15_NS_13TensorAdaptorINS4_IJNSB_IS6_Lb0EEES1B_NS_23Merge_v2_magic_divisionINS4_IJiiiiEEEEEEEENS4_IJSJ_SL_NSI_IJLi2ELi3ELi4ELi5EEEEEEENS4_IJNSI_IJLi2ELi4EEEENSI_IJLi3ELi5EEEENSI_IJLi6EEEEEEENSI_IJLi0ELi1EEEES1K_EELb0EEEvPKT0_S1Q_PT1_T2_T3_T4_T5_T6_T7_T8_.private_seg_size, 0
	.set _ZN2ck32kernel_gemm_xdlops_skip_b_lds_v1INS_48GridwiseGemm_k0mk1_k0nk1_mn_xdlops_skip_b_lds_v1ILi256EfffLNS_25InMemoryDataOperationEnumE0ENS_16TensorDescriptorINS_5TupleIJNS_5EmbedINS4_IJiiEEENS4_IJiNS_17integral_constantIiLi1EEEEEELb0EEENS_7UnMergeINS4_IJiNS7_IiLi4EEEEEELb0EEENS_11PassThroughIiEEEEENS4_IJNS_8SequenceIJLi0EEEENSI_IJLi2EEEENSI_IJLi1EEEEEEENS4_IJNSI_IJLi1ELi2EEEENSI_IJLi3ELi4EEEENSI_IJLi5EEEEEEENSI_IJLi3ELi5ELi4EEEElEENS3_INS4_IJNS5_IS6_NS4_IJS8_iEEELb0EEESE_SG_EEENS4_IJSJ_SL_SK_EEESQ_SR_lEENS3_INS4_IJSA_SG_SG_EEESW_NS4_IJSN_NSI_IJLi3EEEENSI_IJLi4EEEEEEESO_lEENS_16tensor_operation12element_wise11PassThroughES15_S15_Li16ELi128ELi4ELi16ELi16ELi4ELi1ELi2ENSI_IJLi16ELi16ELi1EEEENSI_IJLi1ELi0ELi2EEEES17_Li2ELi4ELi4ELb0ELb1ELi4ELb0ELi4ENSI_IJLi0ELi2ELi4ELi5ELi6ELi1ELi3ELi7EEEELi7ELi1EEEffSS_SX_S12_S15_S15_S15_NS_13TensorAdaptorINS4_IJNSB_IS6_Lb0EEES1B_NS_23Merge_v2_magic_divisionINS4_IJiiiiEEEEEEEENS4_IJSJ_SL_NSI_IJLi2ELi3ELi4ELi5EEEEEEENS4_IJNSI_IJLi2ELi4EEEENSI_IJLi3ELi5EEEENSI_IJLi6EEEEEEENSI_IJLi0ELi1EEEES1K_EELb0EEEvPKT0_S1Q_PT1_T2_T3_T4_T5_T6_T7_T8_.uses_vcc, 0
	.set _ZN2ck32kernel_gemm_xdlops_skip_b_lds_v1INS_48GridwiseGemm_k0mk1_k0nk1_mn_xdlops_skip_b_lds_v1ILi256EfffLNS_25InMemoryDataOperationEnumE0ENS_16TensorDescriptorINS_5TupleIJNS_5EmbedINS4_IJiiEEENS4_IJiNS_17integral_constantIiLi1EEEEEELb0EEENS_7UnMergeINS4_IJiNS7_IiLi4EEEEEELb0EEENS_11PassThroughIiEEEEENS4_IJNS_8SequenceIJLi0EEEENSI_IJLi2EEEENSI_IJLi1EEEEEEENS4_IJNSI_IJLi1ELi2EEEENSI_IJLi3ELi4EEEENSI_IJLi5EEEEEEENSI_IJLi3ELi5ELi4EEEElEENS3_INS4_IJNS5_IS6_NS4_IJS8_iEEELb0EEESE_SG_EEENS4_IJSJ_SL_SK_EEESQ_SR_lEENS3_INS4_IJSA_SG_SG_EEESW_NS4_IJSN_NSI_IJLi3EEEENSI_IJLi4EEEEEEESO_lEENS_16tensor_operation12element_wise11PassThroughES15_S15_Li16ELi128ELi4ELi16ELi16ELi4ELi1ELi2ENSI_IJLi16ELi16ELi1EEEENSI_IJLi1ELi0ELi2EEEES17_Li2ELi4ELi4ELb0ELb1ELi4ELb0ELi4ENSI_IJLi0ELi2ELi4ELi5ELi6ELi1ELi3ELi7EEEELi7ELi1EEEffSS_SX_S12_S15_S15_S15_NS_13TensorAdaptorINS4_IJNSB_IS6_Lb0EEES1B_NS_23Merge_v2_magic_divisionINS4_IJiiiiEEEEEEEENS4_IJSJ_SL_NSI_IJLi2ELi3ELi4ELi5EEEEEEENS4_IJNSI_IJLi2ELi4EEEENSI_IJLi3ELi5EEEENSI_IJLi6EEEEEEENSI_IJLi0ELi1EEEES1K_EELb0EEEvPKT0_S1Q_PT1_T2_T3_T4_T5_T6_T7_T8_.uses_flat_scratch, 0
	.set _ZN2ck32kernel_gemm_xdlops_skip_b_lds_v1INS_48GridwiseGemm_k0mk1_k0nk1_mn_xdlops_skip_b_lds_v1ILi256EfffLNS_25InMemoryDataOperationEnumE0ENS_16TensorDescriptorINS_5TupleIJNS_5EmbedINS4_IJiiEEENS4_IJiNS_17integral_constantIiLi1EEEEEELb0EEENS_7UnMergeINS4_IJiNS7_IiLi4EEEEEELb0EEENS_11PassThroughIiEEEEENS4_IJNS_8SequenceIJLi0EEEENSI_IJLi2EEEENSI_IJLi1EEEEEEENS4_IJNSI_IJLi1ELi2EEEENSI_IJLi3ELi4EEEENSI_IJLi5EEEEEEENSI_IJLi3ELi5ELi4EEEElEENS3_INS4_IJNS5_IS6_NS4_IJS8_iEEELb0EEESE_SG_EEENS4_IJSJ_SL_SK_EEESQ_SR_lEENS3_INS4_IJSA_SG_SG_EEESW_NS4_IJSN_NSI_IJLi3EEEENSI_IJLi4EEEEEEESO_lEENS_16tensor_operation12element_wise11PassThroughES15_S15_Li16ELi128ELi4ELi16ELi16ELi4ELi1ELi2ENSI_IJLi16ELi16ELi1EEEENSI_IJLi1ELi0ELi2EEEES17_Li2ELi4ELi4ELb0ELb1ELi4ELb0ELi4ENSI_IJLi0ELi2ELi4ELi5ELi6ELi1ELi3ELi7EEEELi7ELi1EEEffSS_SX_S12_S15_S15_S15_NS_13TensorAdaptorINS4_IJNSB_IS6_Lb0EEES1B_NS_23Merge_v2_magic_divisionINS4_IJiiiiEEEEEEEENS4_IJSJ_SL_NSI_IJLi2ELi3ELi4ELi5EEEEEEENS4_IJNSI_IJLi2ELi4EEEENSI_IJLi3ELi5EEEENSI_IJLi6EEEEEEENSI_IJLi0ELi1EEEES1K_EELb0EEEvPKT0_S1Q_PT1_T2_T3_T4_T5_T6_T7_T8_.has_dyn_sized_stack, 0
	.set _ZN2ck32kernel_gemm_xdlops_skip_b_lds_v1INS_48GridwiseGemm_k0mk1_k0nk1_mn_xdlops_skip_b_lds_v1ILi256EfffLNS_25InMemoryDataOperationEnumE0ENS_16TensorDescriptorINS_5TupleIJNS_5EmbedINS4_IJiiEEENS4_IJiNS_17integral_constantIiLi1EEEEEELb0EEENS_7UnMergeINS4_IJiNS7_IiLi4EEEEEELb0EEENS_11PassThroughIiEEEEENS4_IJNS_8SequenceIJLi0EEEENSI_IJLi2EEEENSI_IJLi1EEEEEEENS4_IJNSI_IJLi1ELi2EEEENSI_IJLi3ELi4EEEENSI_IJLi5EEEEEEENSI_IJLi3ELi5ELi4EEEElEENS3_INS4_IJNS5_IS6_NS4_IJS8_iEEELb0EEESE_SG_EEENS4_IJSJ_SL_SK_EEESQ_SR_lEENS3_INS4_IJSA_SG_SG_EEESW_NS4_IJSN_NSI_IJLi3EEEENSI_IJLi4EEEEEEESO_lEENS_16tensor_operation12element_wise11PassThroughES15_S15_Li16ELi128ELi4ELi16ELi16ELi4ELi1ELi2ENSI_IJLi16ELi16ELi1EEEENSI_IJLi1ELi0ELi2EEEES17_Li2ELi4ELi4ELb0ELb1ELi4ELb0ELi4ENSI_IJLi0ELi2ELi4ELi5ELi6ELi1ELi3ELi7EEEELi7ELi1EEEffSS_SX_S12_S15_S15_S15_NS_13TensorAdaptorINS4_IJNSB_IS6_Lb0EEES1B_NS_23Merge_v2_magic_divisionINS4_IJiiiiEEEEEEEENS4_IJSJ_SL_NSI_IJLi2ELi3ELi4ELi5EEEEEEENS4_IJNSI_IJLi2ELi4EEEENSI_IJLi3ELi5EEEENSI_IJLi6EEEEEEENSI_IJLi0ELi1EEEES1K_EELb0EEEvPKT0_S1Q_PT1_T2_T3_T4_T5_T6_T7_T8_.has_recursion, 0
	.set _ZN2ck32kernel_gemm_xdlops_skip_b_lds_v1INS_48GridwiseGemm_k0mk1_k0nk1_mn_xdlops_skip_b_lds_v1ILi256EfffLNS_25InMemoryDataOperationEnumE0ENS_16TensorDescriptorINS_5TupleIJNS_5EmbedINS4_IJiiEEENS4_IJiNS_17integral_constantIiLi1EEEEEELb0EEENS_7UnMergeINS4_IJiNS7_IiLi4EEEEEELb0EEENS_11PassThroughIiEEEEENS4_IJNS_8SequenceIJLi0EEEENSI_IJLi2EEEENSI_IJLi1EEEEEEENS4_IJNSI_IJLi1ELi2EEEENSI_IJLi3ELi4EEEENSI_IJLi5EEEEEEENSI_IJLi3ELi5ELi4EEEElEENS3_INS4_IJNS5_IS6_NS4_IJS8_iEEELb0EEESE_SG_EEENS4_IJSJ_SL_SK_EEESQ_SR_lEENS3_INS4_IJSA_SG_SG_EEESW_NS4_IJSN_NSI_IJLi3EEEENSI_IJLi4EEEEEEESO_lEENS_16tensor_operation12element_wise11PassThroughES15_S15_Li16ELi128ELi4ELi16ELi16ELi4ELi1ELi2ENSI_IJLi16ELi16ELi1EEEENSI_IJLi1ELi0ELi2EEEES17_Li2ELi4ELi4ELb0ELb1ELi4ELb0ELi4ENSI_IJLi0ELi2ELi4ELi5ELi6ELi1ELi3ELi7EEEELi7ELi1EEEffSS_SX_S12_S15_S15_S15_NS_13TensorAdaptorINS4_IJNSB_IS6_Lb0EEES1B_NS_23Merge_v2_magic_divisionINS4_IJiiiiEEEEEEEENS4_IJSJ_SL_NSI_IJLi2ELi3ELi4ELi5EEEEEEENS4_IJNSI_IJLi2ELi4EEEENSI_IJLi3ELi5EEEENSI_IJLi6EEEEEEENSI_IJLi0ELi1EEEES1K_EELb0EEEvPKT0_S1Q_PT1_T2_T3_T4_T5_T6_T7_T8_.has_indirect_call, 0
	.section	.AMDGPU.csdata,"",@progbits
; Kernel info:
; codeLenInByte = 4
; TotalNumSgprs: 4
; NumVgprs: 0
; ScratchSize: 0
; MemoryBound: 0
; FloatMode: 240
; IeeeMode: 1
; LDSByteSize: 0 bytes/workgroup (compile time only)
; SGPRBlocks: 0
; VGPRBlocks: 0
; NumSGPRsForWavesPerEU: 4
; NumVGPRsForWavesPerEU: 1
; Occupancy: 10
; WaveLimiterHint : 0
; COMPUTE_PGM_RSRC2:SCRATCH_EN: 0
; COMPUTE_PGM_RSRC2:USER_SGPR: 6
; COMPUTE_PGM_RSRC2:TRAP_HANDLER: 0
; COMPUTE_PGM_RSRC2:TGID_X_EN: 1
; COMPUTE_PGM_RSRC2:TGID_Y_EN: 0
; COMPUTE_PGM_RSRC2:TGID_Z_EN: 0
; COMPUTE_PGM_RSRC2:TIDIG_COMP_CNT: 0
	.section	.text._ZN2ck32kernel_gemm_xdlops_skip_b_lds_v1INS_48GridwiseGemm_k0mk1_k0nk1_mn_xdlops_skip_b_lds_v1ILi256EfffLNS_25InMemoryDataOperationEnumE0ENS_16TensorDescriptorINS_5TupleIJNS_5EmbedINS4_IJiiEEENS4_IJiNS_17integral_constantIiLi1EEEEEELb0EEENS_7UnMergeINS4_IJiNS7_IiLi4EEEEEELb0EEENS_11PassThroughIiEEEEENS4_IJNS_8SequenceIJLi0EEEENSI_IJLi2EEEENSI_IJLi1EEEEEEENS4_IJNSI_IJLi1ELi2EEEENSI_IJLi3ELi4EEEENSI_IJLi5EEEEEEENSI_IJLi3ELi5ELi4EEEElEENS3_INS4_IJNS5_IS6_NS4_IJS8_iEEELb0EEESE_SG_EEENS4_IJSJ_SL_SK_EEESQ_SR_lEENS3_INS4_IJSA_SG_SG_EEESW_NS4_IJSN_NSI_IJLi3EEEENSI_IJLi4EEEEEEESO_lEENS_16tensor_operation12element_wise11PassThroughES15_S15_Li16ELi128ELi4ELi16ELi16ELi4ELi1ELi1ENSI_IJLi16ELi16ELi1EEEENSI_IJLi1ELi0ELi2EEEES17_Li2ELi4ELi4ELb0ELb1ELi4ELb0ELi4ENSI_IJLi0ELi2ELi4ELi5ELi6ELi1ELi3ELi7EEEELi7ELi1EEEffSS_SX_S12_S15_S15_S15_NS_13TensorAdaptorINS4_IJNSB_IS6_Lb0EEES1B_NS_23Merge_v2_magic_divisionINS4_IJiiiiEEEEEEEENS4_IJSJ_SL_NSI_IJLi2ELi3ELi4ELi5EEEEEEENS4_IJNSI_IJLi2ELi4EEEENSI_IJLi3ELi5EEEENSI_IJLi6EEEEEEENSI_IJLi0ELi1EEEES1K_EELb1EEEvPKT0_S1Q_PT1_T2_T3_T4_T5_T6_T7_T8_,"axG",@progbits,_ZN2ck32kernel_gemm_xdlops_skip_b_lds_v1INS_48GridwiseGemm_k0mk1_k0nk1_mn_xdlops_skip_b_lds_v1ILi256EfffLNS_25InMemoryDataOperationEnumE0ENS_16TensorDescriptorINS_5TupleIJNS_5EmbedINS4_IJiiEEENS4_IJiNS_17integral_constantIiLi1EEEEEELb0EEENS_7UnMergeINS4_IJiNS7_IiLi4EEEEEELb0EEENS_11PassThroughIiEEEEENS4_IJNS_8SequenceIJLi0EEEENSI_IJLi2EEEENSI_IJLi1EEEEEEENS4_IJNSI_IJLi1ELi2EEEENSI_IJLi3ELi4EEEENSI_IJLi5EEEEEEENSI_IJLi3ELi5ELi4EEEElEENS3_INS4_IJNS5_IS6_NS4_IJS8_iEEELb0EEESE_SG_EEENS4_IJSJ_SL_SK_EEESQ_SR_lEENS3_INS4_IJSA_SG_SG_EEESW_NS4_IJSN_NSI_IJLi3EEEENSI_IJLi4EEEEEEESO_lEENS_16tensor_operation12element_wise11PassThroughES15_S15_Li16ELi128ELi4ELi16ELi16ELi4ELi1ELi1ENSI_IJLi16ELi16ELi1EEEENSI_IJLi1ELi0ELi2EEEES17_Li2ELi4ELi4ELb0ELb1ELi4ELb0ELi4ENSI_IJLi0ELi2ELi4ELi5ELi6ELi1ELi3ELi7EEEELi7ELi1EEEffSS_SX_S12_S15_S15_S15_NS_13TensorAdaptorINS4_IJNSB_IS6_Lb0EEES1B_NS_23Merge_v2_magic_divisionINS4_IJiiiiEEEEEEEENS4_IJSJ_SL_NSI_IJLi2ELi3ELi4ELi5EEEEEEENS4_IJNSI_IJLi2ELi4EEEENSI_IJLi3ELi5EEEENSI_IJLi6EEEEEEENSI_IJLi0ELi1EEEES1K_EELb1EEEvPKT0_S1Q_PT1_T2_T3_T4_T5_T6_T7_T8_,comdat
	.protected	_ZN2ck32kernel_gemm_xdlops_skip_b_lds_v1INS_48GridwiseGemm_k0mk1_k0nk1_mn_xdlops_skip_b_lds_v1ILi256EfffLNS_25InMemoryDataOperationEnumE0ENS_16TensorDescriptorINS_5TupleIJNS_5EmbedINS4_IJiiEEENS4_IJiNS_17integral_constantIiLi1EEEEEELb0EEENS_7UnMergeINS4_IJiNS7_IiLi4EEEEEELb0EEENS_11PassThroughIiEEEEENS4_IJNS_8SequenceIJLi0EEEENSI_IJLi2EEEENSI_IJLi1EEEEEEENS4_IJNSI_IJLi1ELi2EEEENSI_IJLi3ELi4EEEENSI_IJLi5EEEEEEENSI_IJLi3ELi5ELi4EEEElEENS3_INS4_IJNS5_IS6_NS4_IJS8_iEEELb0EEESE_SG_EEENS4_IJSJ_SL_SK_EEESQ_SR_lEENS3_INS4_IJSA_SG_SG_EEESW_NS4_IJSN_NSI_IJLi3EEEENSI_IJLi4EEEEEEESO_lEENS_16tensor_operation12element_wise11PassThroughES15_S15_Li16ELi128ELi4ELi16ELi16ELi4ELi1ELi1ENSI_IJLi16ELi16ELi1EEEENSI_IJLi1ELi0ELi2EEEES17_Li2ELi4ELi4ELb0ELb1ELi4ELb0ELi4ENSI_IJLi0ELi2ELi4ELi5ELi6ELi1ELi3ELi7EEEELi7ELi1EEEffSS_SX_S12_S15_S15_S15_NS_13TensorAdaptorINS4_IJNSB_IS6_Lb0EEES1B_NS_23Merge_v2_magic_divisionINS4_IJiiiiEEEEEEEENS4_IJSJ_SL_NSI_IJLi2ELi3ELi4ELi5EEEEEEENS4_IJNSI_IJLi2ELi4EEEENSI_IJLi3ELi5EEEENSI_IJLi6EEEEEEENSI_IJLi0ELi1EEEES1K_EELb1EEEvPKT0_S1Q_PT1_T2_T3_T4_T5_T6_T7_T8_ ; -- Begin function _ZN2ck32kernel_gemm_xdlops_skip_b_lds_v1INS_48GridwiseGemm_k0mk1_k0nk1_mn_xdlops_skip_b_lds_v1ILi256EfffLNS_25InMemoryDataOperationEnumE0ENS_16TensorDescriptorINS_5TupleIJNS_5EmbedINS4_IJiiEEENS4_IJiNS_17integral_constantIiLi1EEEEEELb0EEENS_7UnMergeINS4_IJiNS7_IiLi4EEEEEELb0EEENS_11PassThroughIiEEEEENS4_IJNS_8SequenceIJLi0EEEENSI_IJLi2EEEENSI_IJLi1EEEEEEENS4_IJNSI_IJLi1ELi2EEEENSI_IJLi3ELi4EEEENSI_IJLi5EEEEEEENSI_IJLi3ELi5ELi4EEEElEENS3_INS4_IJNS5_IS6_NS4_IJS8_iEEELb0EEESE_SG_EEENS4_IJSJ_SL_SK_EEESQ_SR_lEENS3_INS4_IJSA_SG_SG_EEESW_NS4_IJSN_NSI_IJLi3EEEENSI_IJLi4EEEEEEESO_lEENS_16tensor_operation12element_wise11PassThroughES15_S15_Li16ELi128ELi4ELi16ELi16ELi4ELi1ELi1ENSI_IJLi16ELi16ELi1EEEENSI_IJLi1ELi0ELi2EEEES17_Li2ELi4ELi4ELb0ELb1ELi4ELb0ELi4ENSI_IJLi0ELi2ELi4ELi5ELi6ELi1ELi3ELi7EEEELi7ELi1EEEffSS_SX_S12_S15_S15_S15_NS_13TensorAdaptorINS4_IJNSB_IS6_Lb0EEES1B_NS_23Merge_v2_magic_divisionINS4_IJiiiiEEEEEEEENS4_IJSJ_SL_NSI_IJLi2ELi3ELi4ELi5EEEEEEENS4_IJNSI_IJLi2ELi4EEEENSI_IJLi3ELi5EEEENSI_IJLi6EEEEEEENSI_IJLi0ELi1EEEES1K_EELb1EEEvPKT0_S1Q_PT1_T2_T3_T4_T5_T6_T7_T8_
	.globl	_ZN2ck32kernel_gemm_xdlops_skip_b_lds_v1INS_48GridwiseGemm_k0mk1_k0nk1_mn_xdlops_skip_b_lds_v1ILi256EfffLNS_25InMemoryDataOperationEnumE0ENS_16TensorDescriptorINS_5TupleIJNS_5EmbedINS4_IJiiEEENS4_IJiNS_17integral_constantIiLi1EEEEEELb0EEENS_7UnMergeINS4_IJiNS7_IiLi4EEEEEELb0EEENS_11PassThroughIiEEEEENS4_IJNS_8SequenceIJLi0EEEENSI_IJLi2EEEENSI_IJLi1EEEEEEENS4_IJNSI_IJLi1ELi2EEEENSI_IJLi3ELi4EEEENSI_IJLi5EEEEEEENSI_IJLi3ELi5ELi4EEEElEENS3_INS4_IJNS5_IS6_NS4_IJS8_iEEELb0EEESE_SG_EEENS4_IJSJ_SL_SK_EEESQ_SR_lEENS3_INS4_IJSA_SG_SG_EEESW_NS4_IJSN_NSI_IJLi3EEEENSI_IJLi4EEEEEEESO_lEENS_16tensor_operation12element_wise11PassThroughES15_S15_Li16ELi128ELi4ELi16ELi16ELi4ELi1ELi1ENSI_IJLi16ELi16ELi1EEEENSI_IJLi1ELi0ELi2EEEES17_Li2ELi4ELi4ELb0ELb1ELi4ELb0ELi4ENSI_IJLi0ELi2ELi4ELi5ELi6ELi1ELi3ELi7EEEELi7ELi1EEEffSS_SX_S12_S15_S15_S15_NS_13TensorAdaptorINS4_IJNSB_IS6_Lb0EEES1B_NS_23Merge_v2_magic_divisionINS4_IJiiiiEEEEEEEENS4_IJSJ_SL_NSI_IJLi2ELi3ELi4ELi5EEEEEEENS4_IJNSI_IJLi2ELi4EEEENSI_IJLi3ELi5EEEENSI_IJLi6EEEEEEENSI_IJLi0ELi1EEEES1K_EELb1EEEvPKT0_S1Q_PT1_T2_T3_T4_T5_T6_T7_T8_
	.p2align	8
	.type	_ZN2ck32kernel_gemm_xdlops_skip_b_lds_v1INS_48GridwiseGemm_k0mk1_k0nk1_mn_xdlops_skip_b_lds_v1ILi256EfffLNS_25InMemoryDataOperationEnumE0ENS_16TensorDescriptorINS_5TupleIJNS_5EmbedINS4_IJiiEEENS4_IJiNS_17integral_constantIiLi1EEEEEELb0EEENS_7UnMergeINS4_IJiNS7_IiLi4EEEEEELb0EEENS_11PassThroughIiEEEEENS4_IJNS_8SequenceIJLi0EEEENSI_IJLi2EEEENSI_IJLi1EEEEEEENS4_IJNSI_IJLi1ELi2EEEENSI_IJLi3ELi4EEEENSI_IJLi5EEEEEEENSI_IJLi3ELi5ELi4EEEElEENS3_INS4_IJNS5_IS6_NS4_IJS8_iEEELb0EEESE_SG_EEENS4_IJSJ_SL_SK_EEESQ_SR_lEENS3_INS4_IJSA_SG_SG_EEESW_NS4_IJSN_NSI_IJLi3EEEENSI_IJLi4EEEEEEESO_lEENS_16tensor_operation12element_wise11PassThroughES15_S15_Li16ELi128ELi4ELi16ELi16ELi4ELi1ELi1ENSI_IJLi16ELi16ELi1EEEENSI_IJLi1ELi0ELi2EEEES17_Li2ELi4ELi4ELb0ELb1ELi4ELb0ELi4ENSI_IJLi0ELi2ELi4ELi5ELi6ELi1ELi3ELi7EEEELi7ELi1EEEffSS_SX_S12_S15_S15_S15_NS_13TensorAdaptorINS4_IJNSB_IS6_Lb0EEES1B_NS_23Merge_v2_magic_divisionINS4_IJiiiiEEEEEEEENS4_IJSJ_SL_NSI_IJLi2ELi3ELi4ELi5EEEEEEENS4_IJNSI_IJLi2ELi4EEEENSI_IJLi3ELi5EEEENSI_IJLi6EEEEEEENSI_IJLi0ELi1EEEES1K_EELb1EEEvPKT0_S1Q_PT1_T2_T3_T4_T5_T6_T7_T8_,@function
_ZN2ck32kernel_gemm_xdlops_skip_b_lds_v1INS_48GridwiseGemm_k0mk1_k0nk1_mn_xdlops_skip_b_lds_v1ILi256EfffLNS_25InMemoryDataOperationEnumE0ENS_16TensorDescriptorINS_5TupleIJNS_5EmbedINS4_IJiiEEENS4_IJiNS_17integral_constantIiLi1EEEEEELb0EEENS_7UnMergeINS4_IJiNS7_IiLi4EEEEEELb0EEENS_11PassThroughIiEEEEENS4_IJNS_8SequenceIJLi0EEEENSI_IJLi2EEEENSI_IJLi1EEEEEEENS4_IJNSI_IJLi1ELi2EEEENSI_IJLi3ELi4EEEENSI_IJLi5EEEEEEENSI_IJLi3ELi5ELi4EEEElEENS3_INS4_IJNS5_IS6_NS4_IJS8_iEEELb0EEESE_SG_EEENS4_IJSJ_SL_SK_EEESQ_SR_lEENS3_INS4_IJSA_SG_SG_EEESW_NS4_IJSN_NSI_IJLi3EEEENSI_IJLi4EEEEEEESO_lEENS_16tensor_operation12element_wise11PassThroughES15_S15_Li16ELi128ELi4ELi16ELi16ELi4ELi1ELi1ENSI_IJLi16ELi16ELi1EEEENSI_IJLi1ELi0ELi2EEEES17_Li2ELi4ELi4ELb0ELb1ELi4ELb0ELi4ENSI_IJLi0ELi2ELi4ELi5ELi6ELi1ELi3ELi7EEEELi7ELi1EEEffSS_SX_S12_S15_S15_S15_NS_13TensorAdaptorINS4_IJNSB_IS6_Lb0EEES1B_NS_23Merge_v2_magic_divisionINS4_IJiiiiEEEEEEEENS4_IJSJ_SL_NSI_IJLi2ELi3ELi4ELi5EEEEEEENS4_IJNSI_IJLi2ELi4EEEENSI_IJLi3ELi5EEEENSI_IJLi6EEEEEEENSI_IJLi0ELi1EEEES1K_EELb1EEEvPKT0_S1Q_PT1_T2_T3_T4_T5_T6_T7_T8_: ; @_ZN2ck32kernel_gemm_xdlops_skip_b_lds_v1INS_48GridwiseGemm_k0mk1_k0nk1_mn_xdlops_skip_b_lds_v1ILi256EfffLNS_25InMemoryDataOperationEnumE0ENS_16TensorDescriptorINS_5TupleIJNS_5EmbedINS4_IJiiEEENS4_IJiNS_17integral_constantIiLi1EEEEEELb0EEENS_7UnMergeINS4_IJiNS7_IiLi4EEEEEELb0EEENS_11PassThroughIiEEEEENS4_IJNS_8SequenceIJLi0EEEENSI_IJLi2EEEENSI_IJLi1EEEEEEENS4_IJNSI_IJLi1ELi2EEEENSI_IJLi3ELi4EEEENSI_IJLi5EEEEEEENSI_IJLi3ELi5ELi4EEEElEENS3_INS4_IJNS5_IS6_NS4_IJS8_iEEELb0EEESE_SG_EEENS4_IJSJ_SL_SK_EEESQ_SR_lEENS3_INS4_IJSA_SG_SG_EEESW_NS4_IJSN_NSI_IJLi3EEEENSI_IJLi4EEEEEEESO_lEENS_16tensor_operation12element_wise11PassThroughES15_S15_Li16ELi128ELi4ELi16ELi16ELi4ELi1ELi1ENSI_IJLi16ELi16ELi1EEEENSI_IJLi1ELi0ELi2EEEES17_Li2ELi4ELi4ELb0ELb1ELi4ELb0ELi4ENSI_IJLi0ELi2ELi4ELi5ELi6ELi1ELi3ELi7EEEELi7ELi1EEEffSS_SX_S12_S15_S15_S15_NS_13TensorAdaptorINS4_IJNSB_IS6_Lb0EEES1B_NS_23Merge_v2_magic_divisionINS4_IJiiiiEEEEEEEENS4_IJSJ_SL_NSI_IJLi2ELi3ELi4ELi5EEEEEEENS4_IJNSI_IJLi2ELi4EEEENSI_IJLi3ELi5EEEENSI_IJLi6EEEEEEENSI_IJLi0ELi1EEEES1K_EELb1EEEvPKT0_S1Q_PT1_T2_T3_T4_T5_T6_T7_T8_
; %bb.0:
	s_endpgm
	.section	.rodata,"a",@progbits
	.p2align	6, 0x0
	.amdhsa_kernel _ZN2ck32kernel_gemm_xdlops_skip_b_lds_v1INS_48GridwiseGemm_k0mk1_k0nk1_mn_xdlops_skip_b_lds_v1ILi256EfffLNS_25InMemoryDataOperationEnumE0ENS_16TensorDescriptorINS_5TupleIJNS_5EmbedINS4_IJiiEEENS4_IJiNS_17integral_constantIiLi1EEEEEELb0EEENS_7UnMergeINS4_IJiNS7_IiLi4EEEEEELb0EEENS_11PassThroughIiEEEEENS4_IJNS_8SequenceIJLi0EEEENSI_IJLi2EEEENSI_IJLi1EEEEEEENS4_IJNSI_IJLi1ELi2EEEENSI_IJLi3ELi4EEEENSI_IJLi5EEEEEEENSI_IJLi3ELi5ELi4EEEElEENS3_INS4_IJNS5_IS6_NS4_IJS8_iEEELb0EEESE_SG_EEENS4_IJSJ_SL_SK_EEESQ_SR_lEENS3_INS4_IJSA_SG_SG_EEESW_NS4_IJSN_NSI_IJLi3EEEENSI_IJLi4EEEEEEESO_lEENS_16tensor_operation12element_wise11PassThroughES15_S15_Li16ELi128ELi4ELi16ELi16ELi4ELi1ELi1ENSI_IJLi16ELi16ELi1EEEENSI_IJLi1ELi0ELi2EEEES17_Li2ELi4ELi4ELb0ELb1ELi4ELb0ELi4ENSI_IJLi0ELi2ELi4ELi5ELi6ELi1ELi3ELi7EEEELi7ELi1EEEffSS_SX_S12_S15_S15_S15_NS_13TensorAdaptorINS4_IJNSB_IS6_Lb0EEES1B_NS_23Merge_v2_magic_divisionINS4_IJiiiiEEEEEEEENS4_IJSJ_SL_NSI_IJLi2ELi3ELi4ELi5EEEEEEENS4_IJNSI_IJLi2ELi4EEEENSI_IJLi3ELi5EEEENSI_IJLi6EEEEEEENSI_IJLi0ELi1EEEES1K_EELb1EEEvPKT0_S1Q_PT1_T2_T3_T4_T5_T6_T7_T8_
		.amdhsa_group_segment_fixed_size 0
		.amdhsa_private_segment_fixed_size 0
		.amdhsa_kernarg_size 252
		.amdhsa_user_sgpr_count 6
		.amdhsa_user_sgpr_private_segment_buffer 1
		.amdhsa_user_sgpr_dispatch_ptr 0
		.amdhsa_user_sgpr_queue_ptr 0
		.amdhsa_user_sgpr_kernarg_segment_ptr 1
		.amdhsa_user_sgpr_dispatch_id 0
		.amdhsa_user_sgpr_flat_scratch_init 0
		.amdhsa_user_sgpr_private_segment_size 0
		.amdhsa_uses_dynamic_stack 0
		.amdhsa_system_sgpr_private_segment_wavefront_offset 0
		.amdhsa_system_sgpr_workgroup_id_x 1
		.amdhsa_system_sgpr_workgroup_id_y 0
		.amdhsa_system_sgpr_workgroup_id_z 0
		.amdhsa_system_sgpr_workgroup_info 0
		.amdhsa_system_vgpr_workitem_id 0
		.amdhsa_next_free_vgpr 1
		.amdhsa_next_free_sgpr 0
		.amdhsa_reserve_vcc 0
		.amdhsa_reserve_flat_scratch 0
		.amdhsa_float_round_mode_32 0
		.amdhsa_float_round_mode_16_64 0
		.amdhsa_float_denorm_mode_32 3
		.amdhsa_float_denorm_mode_16_64 3
		.amdhsa_dx10_clamp 1
		.amdhsa_ieee_mode 1
		.amdhsa_fp16_overflow 0
		.amdhsa_exception_fp_ieee_invalid_op 0
		.amdhsa_exception_fp_denorm_src 0
		.amdhsa_exception_fp_ieee_div_zero 0
		.amdhsa_exception_fp_ieee_overflow 0
		.amdhsa_exception_fp_ieee_underflow 0
		.amdhsa_exception_fp_ieee_inexact 0
		.amdhsa_exception_int_div_zero 0
	.end_amdhsa_kernel
	.section	.text._ZN2ck32kernel_gemm_xdlops_skip_b_lds_v1INS_48GridwiseGemm_k0mk1_k0nk1_mn_xdlops_skip_b_lds_v1ILi256EfffLNS_25InMemoryDataOperationEnumE0ENS_16TensorDescriptorINS_5TupleIJNS_5EmbedINS4_IJiiEEENS4_IJiNS_17integral_constantIiLi1EEEEEELb0EEENS_7UnMergeINS4_IJiNS7_IiLi4EEEEEELb0EEENS_11PassThroughIiEEEEENS4_IJNS_8SequenceIJLi0EEEENSI_IJLi2EEEENSI_IJLi1EEEEEEENS4_IJNSI_IJLi1ELi2EEEENSI_IJLi3ELi4EEEENSI_IJLi5EEEEEEENSI_IJLi3ELi5ELi4EEEElEENS3_INS4_IJNS5_IS6_NS4_IJS8_iEEELb0EEESE_SG_EEENS4_IJSJ_SL_SK_EEESQ_SR_lEENS3_INS4_IJSA_SG_SG_EEESW_NS4_IJSN_NSI_IJLi3EEEENSI_IJLi4EEEEEEESO_lEENS_16tensor_operation12element_wise11PassThroughES15_S15_Li16ELi128ELi4ELi16ELi16ELi4ELi1ELi1ENSI_IJLi16ELi16ELi1EEEENSI_IJLi1ELi0ELi2EEEES17_Li2ELi4ELi4ELb0ELb1ELi4ELb0ELi4ENSI_IJLi0ELi2ELi4ELi5ELi6ELi1ELi3ELi7EEEELi7ELi1EEEffSS_SX_S12_S15_S15_S15_NS_13TensorAdaptorINS4_IJNSB_IS6_Lb0EEES1B_NS_23Merge_v2_magic_divisionINS4_IJiiiiEEEEEEEENS4_IJSJ_SL_NSI_IJLi2ELi3ELi4ELi5EEEEEEENS4_IJNSI_IJLi2ELi4EEEENSI_IJLi3ELi5EEEENSI_IJLi6EEEEEEENSI_IJLi0ELi1EEEES1K_EELb1EEEvPKT0_S1Q_PT1_T2_T3_T4_T5_T6_T7_T8_,"axG",@progbits,_ZN2ck32kernel_gemm_xdlops_skip_b_lds_v1INS_48GridwiseGemm_k0mk1_k0nk1_mn_xdlops_skip_b_lds_v1ILi256EfffLNS_25InMemoryDataOperationEnumE0ENS_16TensorDescriptorINS_5TupleIJNS_5EmbedINS4_IJiiEEENS4_IJiNS_17integral_constantIiLi1EEEEEELb0EEENS_7UnMergeINS4_IJiNS7_IiLi4EEEEEELb0EEENS_11PassThroughIiEEEEENS4_IJNS_8SequenceIJLi0EEEENSI_IJLi2EEEENSI_IJLi1EEEEEEENS4_IJNSI_IJLi1ELi2EEEENSI_IJLi3ELi4EEEENSI_IJLi5EEEEEEENSI_IJLi3ELi5ELi4EEEElEENS3_INS4_IJNS5_IS6_NS4_IJS8_iEEELb0EEESE_SG_EEENS4_IJSJ_SL_SK_EEESQ_SR_lEENS3_INS4_IJSA_SG_SG_EEESW_NS4_IJSN_NSI_IJLi3EEEENSI_IJLi4EEEEEEESO_lEENS_16tensor_operation12element_wise11PassThroughES15_S15_Li16ELi128ELi4ELi16ELi16ELi4ELi1ELi1ENSI_IJLi16ELi16ELi1EEEENSI_IJLi1ELi0ELi2EEEES17_Li2ELi4ELi4ELb0ELb1ELi4ELb0ELi4ENSI_IJLi0ELi2ELi4ELi5ELi6ELi1ELi3ELi7EEEELi7ELi1EEEffSS_SX_S12_S15_S15_S15_NS_13TensorAdaptorINS4_IJNSB_IS6_Lb0EEES1B_NS_23Merge_v2_magic_divisionINS4_IJiiiiEEEEEEEENS4_IJSJ_SL_NSI_IJLi2ELi3ELi4ELi5EEEEEEENS4_IJNSI_IJLi2ELi4EEEENSI_IJLi3ELi5EEEENSI_IJLi6EEEEEEENSI_IJLi0ELi1EEEES1K_EELb1EEEvPKT0_S1Q_PT1_T2_T3_T4_T5_T6_T7_T8_,comdat
.Lfunc_end3:
	.size	_ZN2ck32kernel_gemm_xdlops_skip_b_lds_v1INS_48GridwiseGemm_k0mk1_k0nk1_mn_xdlops_skip_b_lds_v1ILi256EfffLNS_25InMemoryDataOperationEnumE0ENS_16TensorDescriptorINS_5TupleIJNS_5EmbedINS4_IJiiEEENS4_IJiNS_17integral_constantIiLi1EEEEEELb0EEENS_7UnMergeINS4_IJiNS7_IiLi4EEEEEELb0EEENS_11PassThroughIiEEEEENS4_IJNS_8SequenceIJLi0EEEENSI_IJLi2EEEENSI_IJLi1EEEEEEENS4_IJNSI_IJLi1ELi2EEEENSI_IJLi3ELi4EEEENSI_IJLi5EEEEEEENSI_IJLi3ELi5ELi4EEEElEENS3_INS4_IJNS5_IS6_NS4_IJS8_iEEELb0EEESE_SG_EEENS4_IJSJ_SL_SK_EEESQ_SR_lEENS3_INS4_IJSA_SG_SG_EEESW_NS4_IJSN_NSI_IJLi3EEEENSI_IJLi4EEEEEEESO_lEENS_16tensor_operation12element_wise11PassThroughES15_S15_Li16ELi128ELi4ELi16ELi16ELi4ELi1ELi1ENSI_IJLi16ELi16ELi1EEEENSI_IJLi1ELi0ELi2EEEES17_Li2ELi4ELi4ELb0ELb1ELi4ELb0ELi4ENSI_IJLi0ELi2ELi4ELi5ELi6ELi1ELi3ELi7EEEELi7ELi1EEEffSS_SX_S12_S15_S15_S15_NS_13TensorAdaptorINS4_IJNSB_IS6_Lb0EEES1B_NS_23Merge_v2_magic_divisionINS4_IJiiiiEEEEEEEENS4_IJSJ_SL_NSI_IJLi2ELi3ELi4ELi5EEEEEEENS4_IJNSI_IJLi2ELi4EEEENSI_IJLi3ELi5EEEENSI_IJLi6EEEEEEENSI_IJLi0ELi1EEEES1K_EELb1EEEvPKT0_S1Q_PT1_T2_T3_T4_T5_T6_T7_T8_, .Lfunc_end3-_ZN2ck32kernel_gemm_xdlops_skip_b_lds_v1INS_48GridwiseGemm_k0mk1_k0nk1_mn_xdlops_skip_b_lds_v1ILi256EfffLNS_25InMemoryDataOperationEnumE0ENS_16TensorDescriptorINS_5TupleIJNS_5EmbedINS4_IJiiEEENS4_IJiNS_17integral_constantIiLi1EEEEEELb0EEENS_7UnMergeINS4_IJiNS7_IiLi4EEEEEELb0EEENS_11PassThroughIiEEEEENS4_IJNS_8SequenceIJLi0EEEENSI_IJLi2EEEENSI_IJLi1EEEEEEENS4_IJNSI_IJLi1ELi2EEEENSI_IJLi3ELi4EEEENSI_IJLi5EEEEEEENSI_IJLi3ELi5ELi4EEEElEENS3_INS4_IJNS5_IS6_NS4_IJS8_iEEELb0EEESE_SG_EEENS4_IJSJ_SL_SK_EEESQ_SR_lEENS3_INS4_IJSA_SG_SG_EEESW_NS4_IJSN_NSI_IJLi3EEEENSI_IJLi4EEEEEEESO_lEENS_16tensor_operation12element_wise11PassThroughES15_S15_Li16ELi128ELi4ELi16ELi16ELi4ELi1ELi1ENSI_IJLi16ELi16ELi1EEEENSI_IJLi1ELi0ELi2EEEES17_Li2ELi4ELi4ELb0ELb1ELi4ELb0ELi4ENSI_IJLi0ELi2ELi4ELi5ELi6ELi1ELi3ELi7EEEELi7ELi1EEEffSS_SX_S12_S15_S15_S15_NS_13TensorAdaptorINS4_IJNSB_IS6_Lb0EEES1B_NS_23Merge_v2_magic_divisionINS4_IJiiiiEEEEEEEENS4_IJSJ_SL_NSI_IJLi2ELi3ELi4ELi5EEEEEEENS4_IJNSI_IJLi2ELi4EEEENSI_IJLi3ELi5EEEENSI_IJLi6EEEEEEENSI_IJLi0ELi1EEEES1K_EELb1EEEvPKT0_S1Q_PT1_T2_T3_T4_T5_T6_T7_T8_
                                        ; -- End function
	.set _ZN2ck32kernel_gemm_xdlops_skip_b_lds_v1INS_48GridwiseGemm_k0mk1_k0nk1_mn_xdlops_skip_b_lds_v1ILi256EfffLNS_25InMemoryDataOperationEnumE0ENS_16TensorDescriptorINS_5TupleIJNS_5EmbedINS4_IJiiEEENS4_IJiNS_17integral_constantIiLi1EEEEEELb0EEENS_7UnMergeINS4_IJiNS7_IiLi4EEEEEELb0EEENS_11PassThroughIiEEEEENS4_IJNS_8SequenceIJLi0EEEENSI_IJLi2EEEENSI_IJLi1EEEEEEENS4_IJNSI_IJLi1ELi2EEEENSI_IJLi3ELi4EEEENSI_IJLi5EEEEEEENSI_IJLi3ELi5ELi4EEEElEENS3_INS4_IJNS5_IS6_NS4_IJS8_iEEELb0EEESE_SG_EEENS4_IJSJ_SL_SK_EEESQ_SR_lEENS3_INS4_IJSA_SG_SG_EEESW_NS4_IJSN_NSI_IJLi3EEEENSI_IJLi4EEEEEEESO_lEENS_16tensor_operation12element_wise11PassThroughES15_S15_Li16ELi128ELi4ELi16ELi16ELi4ELi1ELi1ENSI_IJLi16ELi16ELi1EEEENSI_IJLi1ELi0ELi2EEEES17_Li2ELi4ELi4ELb0ELb1ELi4ELb0ELi4ENSI_IJLi0ELi2ELi4ELi5ELi6ELi1ELi3ELi7EEEELi7ELi1EEEffSS_SX_S12_S15_S15_S15_NS_13TensorAdaptorINS4_IJNSB_IS6_Lb0EEES1B_NS_23Merge_v2_magic_divisionINS4_IJiiiiEEEEEEEENS4_IJSJ_SL_NSI_IJLi2ELi3ELi4ELi5EEEEEEENS4_IJNSI_IJLi2ELi4EEEENSI_IJLi3ELi5EEEENSI_IJLi6EEEEEEENSI_IJLi0ELi1EEEES1K_EELb1EEEvPKT0_S1Q_PT1_T2_T3_T4_T5_T6_T7_T8_.num_vgpr, 0
	.set _ZN2ck32kernel_gemm_xdlops_skip_b_lds_v1INS_48GridwiseGemm_k0mk1_k0nk1_mn_xdlops_skip_b_lds_v1ILi256EfffLNS_25InMemoryDataOperationEnumE0ENS_16TensorDescriptorINS_5TupleIJNS_5EmbedINS4_IJiiEEENS4_IJiNS_17integral_constantIiLi1EEEEEELb0EEENS_7UnMergeINS4_IJiNS7_IiLi4EEEEEELb0EEENS_11PassThroughIiEEEEENS4_IJNS_8SequenceIJLi0EEEENSI_IJLi2EEEENSI_IJLi1EEEEEEENS4_IJNSI_IJLi1ELi2EEEENSI_IJLi3ELi4EEEENSI_IJLi5EEEEEEENSI_IJLi3ELi5ELi4EEEElEENS3_INS4_IJNS5_IS6_NS4_IJS8_iEEELb0EEESE_SG_EEENS4_IJSJ_SL_SK_EEESQ_SR_lEENS3_INS4_IJSA_SG_SG_EEESW_NS4_IJSN_NSI_IJLi3EEEENSI_IJLi4EEEEEEESO_lEENS_16tensor_operation12element_wise11PassThroughES15_S15_Li16ELi128ELi4ELi16ELi16ELi4ELi1ELi1ENSI_IJLi16ELi16ELi1EEEENSI_IJLi1ELi0ELi2EEEES17_Li2ELi4ELi4ELb0ELb1ELi4ELb0ELi4ENSI_IJLi0ELi2ELi4ELi5ELi6ELi1ELi3ELi7EEEELi7ELi1EEEffSS_SX_S12_S15_S15_S15_NS_13TensorAdaptorINS4_IJNSB_IS6_Lb0EEES1B_NS_23Merge_v2_magic_divisionINS4_IJiiiiEEEEEEEENS4_IJSJ_SL_NSI_IJLi2ELi3ELi4ELi5EEEEEEENS4_IJNSI_IJLi2ELi4EEEENSI_IJLi3ELi5EEEENSI_IJLi6EEEEEEENSI_IJLi0ELi1EEEES1K_EELb1EEEvPKT0_S1Q_PT1_T2_T3_T4_T5_T6_T7_T8_.num_agpr, 0
	.set _ZN2ck32kernel_gemm_xdlops_skip_b_lds_v1INS_48GridwiseGemm_k0mk1_k0nk1_mn_xdlops_skip_b_lds_v1ILi256EfffLNS_25InMemoryDataOperationEnumE0ENS_16TensorDescriptorINS_5TupleIJNS_5EmbedINS4_IJiiEEENS4_IJiNS_17integral_constantIiLi1EEEEEELb0EEENS_7UnMergeINS4_IJiNS7_IiLi4EEEEEELb0EEENS_11PassThroughIiEEEEENS4_IJNS_8SequenceIJLi0EEEENSI_IJLi2EEEENSI_IJLi1EEEEEEENS4_IJNSI_IJLi1ELi2EEEENSI_IJLi3ELi4EEEENSI_IJLi5EEEEEEENSI_IJLi3ELi5ELi4EEEElEENS3_INS4_IJNS5_IS6_NS4_IJS8_iEEELb0EEESE_SG_EEENS4_IJSJ_SL_SK_EEESQ_SR_lEENS3_INS4_IJSA_SG_SG_EEESW_NS4_IJSN_NSI_IJLi3EEEENSI_IJLi4EEEEEEESO_lEENS_16tensor_operation12element_wise11PassThroughES15_S15_Li16ELi128ELi4ELi16ELi16ELi4ELi1ELi1ENSI_IJLi16ELi16ELi1EEEENSI_IJLi1ELi0ELi2EEEES17_Li2ELi4ELi4ELb0ELb1ELi4ELb0ELi4ENSI_IJLi0ELi2ELi4ELi5ELi6ELi1ELi3ELi7EEEELi7ELi1EEEffSS_SX_S12_S15_S15_S15_NS_13TensorAdaptorINS4_IJNSB_IS6_Lb0EEES1B_NS_23Merge_v2_magic_divisionINS4_IJiiiiEEEEEEEENS4_IJSJ_SL_NSI_IJLi2ELi3ELi4ELi5EEEEEEENS4_IJNSI_IJLi2ELi4EEEENSI_IJLi3ELi5EEEENSI_IJLi6EEEEEEENSI_IJLi0ELi1EEEES1K_EELb1EEEvPKT0_S1Q_PT1_T2_T3_T4_T5_T6_T7_T8_.numbered_sgpr, 0
	.set _ZN2ck32kernel_gemm_xdlops_skip_b_lds_v1INS_48GridwiseGemm_k0mk1_k0nk1_mn_xdlops_skip_b_lds_v1ILi256EfffLNS_25InMemoryDataOperationEnumE0ENS_16TensorDescriptorINS_5TupleIJNS_5EmbedINS4_IJiiEEENS4_IJiNS_17integral_constantIiLi1EEEEEELb0EEENS_7UnMergeINS4_IJiNS7_IiLi4EEEEEELb0EEENS_11PassThroughIiEEEEENS4_IJNS_8SequenceIJLi0EEEENSI_IJLi2EEEENSI_IJLi1EEEEEEENS4_IJNSI_IJLi1ELi2EEEENSI_IJLi3ELi4EEEENSI_IJLi5EEEEEEENSI_IJLi3ELi5ELi4EEEElEENS3_INS4_IJNS5_IS6_NS4_IJS8_iEEELb0EEESE_SG_EEENS4_IJSJ_SL_SK_EEESQ_SR_lEENS3_INS4_IJSA_SG_SG_EEESW_NS4_IJSN_NSI_IJLi3EEEENSI_IJLi4EEEEEEESO_lEENS_16tensor_operation12element_wise11PassThroughES15_S15_Li16ELi128ELi4ELi16ELi16ELi4ELi1ELi1ENSI_IJLi16ELi16ELi1EEEENSI_IJLi1ELi0ELi2EEEES17_Li2ELi4ELi4ELb0ELb1ELi4ELb0ELi4ENSI_IJLi0ELi2ELi4ELi5ELi6ELi1ELi3ELi7EEEELi7ELi1EEEffSS_SX_S12_S15_S15_S15_NS_13TensorAdaptorINS4_IJNSB_IS6_Lb0EEES1B_NS_23Merge_v2_magic_divisionINS4_IJiiiiEEEEEEEENS4_IJSJ_SL_NSI_IJLi2ELi3ELi4ELi5EEEEEEENS4_IJNSI_IJLi2ELi4EEEENSI_IJLi3ELi5EEEENSI_IJLi6EEEEEEENSI_IJLi0ELi1EEEES1K_EELb1EEEvPKT0_S1Q_PT1_T2_T3_T4_T5_T6_T7_T8_.num_named_barrier, 0
	.set _ZN2ck32kernel_gemm_xdlops_skip_b_lds_v1INS_48GridwiseGemm_k0mk1_k0nk1_mn_xdlops_skip_b_lds_v1ILi256EfffLNS_25InMemoryDataOperationEnumE0ENS_16TensorDescriptorINS_5TupleIJNS_5EmbedINS4_IJiiEEENS4_IJiNS_17integral_constantIiLi1EEEEEELb0EEENS_7UnMergeINS4_IJiNS7_IiLi4EEEEEELb0EEENS_11PassThroughIiEEEEENS4_IJNS_8SequenceIJLi0EEEENSI_IJLi2EEEENSI_IJLi1EEEEEEENS4_IJNSI_IJLi1ELi2EEEENSI_IJLi3ELi4EEEENSI_IJLi5EEEEEEENSI_IJLi3ELi5ELi4EEEElEENS3_INS4_IJNS5_IS6_NS4_IJS8_iEEELb0EEESE_SG_EEENS4_IJSJ_SL_SK_EEESQ_SR_lEENS3_INS4_IJSA_SG_SG_EEESW_NS4_IJSN_NSI_IJLi3EEEENSI_IJLi4EEEEEEESO_lEENS_16tensor_operation12element_wise11PassThroughES15_S15_Li16ELi128ELi4ELi16ELi16ELi4ELi1ELi1ENSI_IJLi16ELi16ELi1EEEENSI_IJLi1ELi0ELi2EEEES17_Li2ELi4ELi4ELb0ELb1ELi4ELb0ELi4ENSI_IJLi0ELi2ELi4ELi5ELi6ELi1ELi3ELi7EEEELi7ELi1EEEffSS_SX_S12_S15_S15_S15_NS_13TensorAdaptorINS4_IJNSB_IS6_Lb0EEES1B_NS_23Merge_v2_magic_divisionINS4_IJiiiiEEEEEEEENS4_IJSJ_SL_NSI_IJLi2ELi3ELi4ELi5EEEEEEENS4_IJNSI_IJLi2ELi4EEEENSI_IJLi3ELi5EEEENSI_IJLi6EEEEEEENSI_IJLi0ELi1EEEES1K_EELb1EEEvPKT0_S1Q_PT1_T2_T3_T4_T5_T6_T7_T8_.private_seg_size, 0
	.set _ZN2ck32kernel_gemm_xdlops_skip_b_lds_v1INS_48GridwiseGemm_k0mk1_k0nk1_mn_xdlops_skip_b_lds_v1ILi256EfffLNS_25InMemoryDataOperationEnumE0ENS_16TensorDescriptorINS_5TupleIJNS_5EmbedINS4_IJiiEEENS4_IJiNS_17integral_constantIiLi1EEEEEELb0EEENS_7UnMergeINS4_IJiNS7_IiLi4EEEEEELb0EEENS_11PassThroughIiEEEEENS4_IJNS_8SequenceIJLi0EEEENSI_IJLi2EEEENSI_IJLi1EEEEEEENS4_IJNSI_IJLi1ELi2EEEENSI_IJLi3ELi4EEEENSI_IJLi5EEEEEEENSI_IJLi3ELi5ELi4EEEElEENS3_INS4_IJNS5_IS6_NS4_IJS8_iEEELb0EEESE_SG_EEENS4_IJSJ_SL_SK_EEESQ_SR_lEENS3_INS4_IJSA_SG_SG_EEESW_NS4_IJSN_NSI_IJLi3EEEENSI_IJLi4EEEEEEESO_lEENS_16tensor_operation12element_wise11PassThroughES15_S15_Li16ELi128ELi4ELi16ELi16ELi4ELi1ELi1ENSI_IJLi16ELi16ELi1EEEENSI_IJLi1ELi0ELi2EEEES17_Li2ELi4ELi4ELb0ELb1ELi4ELb0ELi4ENSI_IJLi0ELi2ELi4ELi5ELi6ELi1ELi3ELi7EEEELi7ELi1EEEffSS_SX_S12_S15_S15_S15_NS_13TensorAdaptorINS4_IJNSB_IS6_Lb0EEES1B_NS_23Merge_v2_magic_divisionINS4_IJiiiiEEEEEEEENS4_IJSJ_SL_NSI_IJLi2ELi3ELi4ELi5EEEEEEENS4_IJNSI_IJLi2ELi4EEEENSI_IJLi3ELi5EEEENSI_IJLi6EEEEEEENSI_IJLi0ELi1EEEES1K_EELb1EEEvPKT0_S1Q_PT1_T2_T3_T4_T5_T6_T7_T8_.uses_vcc, 0
	.set _ZN2ck32kernel_gemm_xdlops_skip_b_lds_v1INS_48GridwiseGemm_k0mk1_k0nk1_mn_xdlops_skip_b_lds_v1ILi256EfffLNS_25InMemoryDataOperationEnumE0ENS_16TensorDescriptorINS_5TupleIJNS_5EmbedINS4_IJiiEEENS4_IJiNS_17integral_constantIiLi1EEEEEELb0EEENS_7UnMergeINS4_IJiNS7_IiLi4EEEEEELb0EEENS_11PassThroughIiEEEEENS4_IJNS_8SequenceIJLi0EEEENSI_IJLi2EEEENSI_IJLi1EEEEEEENS4_IJNSI_IJLi1ELi2EEEENSI_IJLi3ELi4EEEENSI_IJLi5EEEEEEENSI_IJLi3ELi5ELi4EEEElEENS3_INS4_IJNS5_IS6_NS4_IJS8_iEEELb0EEESE_SG_EEENS4_IJSJ_SL_SK_EEESQ_SR_lEENS3_INS4_IJSA_SG_SG_EEESW_NS4_IJSN_NSI_IJLi3EEEENSI_IJLi4EEEEEEESO_lEENS_16tensor_operation12element_wise11PassThroughES15_S15_Li16ELi128ELi4ELi16ELi16ELi4ELi1ELi1ENSI_IJLi16ELi16ELi1EEEENSI_IJLi1ELi0ELi2EEEES17_Li2ELi4ELi4ELb0ELb1ELi4ELb0ELi4ENSI_IJLi0ELi2ELi4ELi5ELi6ELi1ELi3ELi7EEEELi7ELi1EEEffSS_SX_S12_S15_S15_S15_NS_13TensorAdaptorINS4_IJNSB_IS6_Lb0EEES1B_NS_23Merge_v2_magic_divisionINS4_IJiiiiEEEEEEEENS4_IJSJ_SL_NSI_IJLi2ELi3ELi4ELi5EEEEEEENS4_IJNSI_IJLi2ELi4EEEENSI_IJLi3ELi5EEEENSI_IJLi6EEEEEEENSI_IJLi0ELi1EEEES1K_EELb1EEEvPKT0_S1Q_PT1_T2_T3_T4_T5_T6_T7_T8_.uses_flat_scratch, 0
	.set _ZN2ck32kernel_gemm_xdlops_skip_b_lds_v1INS_48GridwiseGemm_k0mk1_k0nk1_mn_xdlops_skip_b_lds_v1ILi256EfffLNS_25InMemoryDataOperationEnumE0ENS_16TensorDescriptorINS_5TupleIJNS_5EmbedINS4_IJiiEEENS4_IJiNS_17integral_constantIiLi1EEEEEELb0EEENS_7UnMergeINS4_IJiNS7_IiLi4EEEEEELb0EEENS_11PassThroughIiEEEEENS4_IJNS_8SequenceIJLi0EEEENSI_IJLi2EEEENSI_IJLi1EEEEEEENS4_IJNSI_IJLi1ELi2EEEENSI_IJLi3ELi4EEEENSI_IJLi5EEEEEEENSI_IJLi3ELi5ELi4EEEElEENS3_INS4_IJNS5_IS6_NS4_IJS8_iEEELb0EEESE_SG_EEENS4_IJSJ_SL_SK_EEESQ_SR_lEENS3_INS4_IJSA_SG_SG_EEESW_NS4_IJSN_NSI_IJLi3EEEENSI_IJLi4EEEEEEESO_lEENS_16tensor_operation12element_wise11PassThroughES15_S15_Li16ELi128ELi4ELi16ELi16ELi4ELi1ELi1ENSI_IJLi16ELi16ELi1EEEENSI_IJLi1ELi0ELi2EEEES17_Li2ELi4ELi4ELb0ELb1ELi4ELb0ELi4ENSI_IJLi0ELi2ELi4ELi5ELi6ELi1ELi3ELi7EEEELi7ELi1EEEffSS_SX_S12_S15_S15_S15_NS_13TensorAdaptorINS4_IJNSB_IS6_Lb0EEES1B_NS_23Merge_v2_magic_divisionINS4_IJiiiiEEEEEEEENS4_IJSJ_SL_NSI_IJLi2ELi3ELi4ELi5EEEEEEENS4_IJNSI_IJLi2ELi4EEEENSI_IJLi3ELi5EEEENSI_IJLi6EEEEEEENSI_IJLi0ELi1EEEES1K_EELb1EEEvPKT0_S1Q_PT1_T2_T3_T4_T5_T6_T7_T8_.has_dyn_sized_stack, 0
	.set _ZN2ck32kernel_gemm_xdlops_skip_b_lds_v1INS_48GridwiseGemm_k0mk1_k0nk1_mn_xdlops_skip_b_lds_v1ILi256EfffLNS_25InMemoryDataOperationEnumE0ENS_16TensorDescriptorINS_5TupleIJNS_5EmbedINS4_IJiiEEENS4_IJiNS_17integral_constantIiLi1EEEEEELb0EEENS_7UnMergeINS4_IJiNS7_IiLi4EEEEEELb0EEENS_11PassThroughIiEEEEENS4_IJNS_8SequenceIJLi0EEEENSI_IJLi2EEEENSI_IJLi1EEEEEEENS4_IJNSI_IJLi1ELi2EEEENSI_IJLi3ELi4EEEENSI_IJLi5EEEEEEENSI_IJLi3ELi5ELi4EEEElEENS3_INS4_IJNS5_IS6_NS4_IJS8_iEEELb0EEESE_SG_EEENS4_IJSJ_SL_SK_EEESQ_SR_lEENS3_INS4_IJSA_SG_SG_EEESW_NS4_IJSN_NSI_IJLi3EEEENSI_IJLi4EEEEEEESO_lEENS_16tensor_operation12element_wise11PassThroughES15_S15_Li16ELi128ELi4ELi16ELi16ELi4ELi1ELi1ENSI_IJLi16ELi16ELi1EEEENSI_IJLi1ELi0ELi2EEEES17_Li2ELi4ELi4ELb0ELb1ELi4ELb0ELi4ENSI_IJLi0ELi2ELi4ELi5ELi6ELi1ELi3ELi7EEEELi7ELi1EEEffSS_SX_S12_S15_S15_S15_NS_13TensorAdaptorINS4_IJNSB_IS6_Lb0EEES1B_NS_23Merge_v2_magic_divisionINS4_IJiiiiEEEEEEEENS4_IJSJ_SL_NSI_IJLi2ELi3ELi4ELi5EEEEEEENS4_IJNSI_IJLi2ELi4EEEENSI_IJLi3ELi5EEEENSI_IJLi6EEEEEEENSI_IJLi0ELi1EEEES1K_EELb1EEEvPKT0_S1Q_PT1_T2_T3_T4_T5_T6_T7_T8_.has_recursion, 0
	.set _ZN2ck32kernel_gemm_xdlops_skip_b_lds_v1INS_48GridwiseGemm_k0mk1_k0nk1_mn_xdlops_skip_b_lds_v1ILi256EfffLNS_25InMemoryDataOperationEnumE0ENS_16TensorDescriptorINS_5TupleIJNS_5EmbedINS4_IJiiEEENS4_IJiNS_17integral_constantIiLi1EEEEEELb0EEENS_7UnMergeINS4_IJiNS7_IiLi4EEEEEELb0EEENS_11PassThroughIiEEEEENS4_IJNS_8SequenceIJLi0EEEENSI_IJLi2EEEENSI_IJLi1EEEEEEENS4_IJNSI_IJLi1ELi2EEEENSI_IJLi3ELi4EEEENSI_IJLi5EEEEEEENSI_IJLi3ELi5ELi4EEEElEENS3_INS4_IJNS5_IS6_NS4_IJS8_iEEELb0EEESE_SG_EEENS4_IJSJ_SL_SK_EEESQ_SR_lEENS3_INS4_IJSA_SG_SG_EEESW_NS4_IJSN_NSI_IJLi3EEEENSI_IJLi4EEEEEEESO_lEENS_16tensor_operation12element_wise11PassThroughES15_S15_Li16ELi128ELi4ELi16ELi16ELi4ELi1ELi1ENSI_IJLi16ELi16ELi1EEEENSI_IJLi1ELi0ELi2EEEES17_Li2ELi4ELi4ELb0ELb1ELi4ELb0ELi4ENSI_IJLi0ELi2ELi4ELi5ELi6ELi1ELi3ELi7EEEELi7ELi1EEEffSS_SX_S12_S15_S15_S15_NS_13TensorAdaptorINS4_IJNSB_IS6_Lb0EEES1B_NS_23Merge_v2_magic_divisionINS4_IJiiiiEEEEEEEENS4_IJSJ_SL_NSI_IJLi2ELi3ELi4ELi5EEEEEEENS4_IJNSI_IJLi2ELi4EEEENSI_IJLi3ELi5EEEENSI_IJLi6EEEEEEENSI_IJLi0ELi1EEEES1K_EELb1EEEvPKT0_S1Q_PT1_T2_T3_T4_T5_T6_T7_T8_.has_indirect_call, 0
	.section	.AMDGPU.csdata,"",@progbits
; Kernel info:
; codeLenInByte = 4
; TotalNumSgprs: 4
; NumVgprs: 0
; ScratchSize: 0
; MemoryBound: 0
; FloatMode: 240
; IeeeMode: 1
; LDSByteSize: 0 bytes/workgroup (compile time only)
; SGPRBlocks: 0
; VGPRBlocks: 0
; NumSGPRsForWavesPerEU: 4
; NumVGPRsForWavesPerEU: 1
; Occupancy: 10
; WaveLimiterHint : 0
; COMPUTE_PGM_RSRC2:SCRATCH_EN: 0
; COMPUTE_PGM_RSRC2:USER_SGPR: 6
; COMPUTE_PGM_RSRC2:TRAP_HANDLER: 0
; COMPUTE_PGM_RSRC2:TGID_X_EN: 1
; COMPUTE_PGM_RSRC2:TGID_Y_EN: 0
; COMPUTE_PGM_RSRC2:TGID_Z_EN: 0
; COMPUTE_PGM_RSRC2:TIDIG_COMP_CNT: 0
	.section	.text._ZN2ck32kernel_gemm_xdlops_skip_b_lds_v1INS_48GridwiseGemm_k0mk1_k0nk1_mn_xdlops_skip_b_lds_v1ILi256EfffLNS_25InMemoryDataOperationEnumE0ENS_16TensorDescriptorINS_5TupleIJNS_5EmbedINS4_IJiiEEENS4_IJiNS_17integral_constantIiLi1EEEEEELb0EEENS_7UnMergeINS4_IJiNS7_IiLi4EEEEEELb0EEENS_11PassThroughIiEEEEENS4_IJNS_8SequenceIJLi0EEEENSI_IJLi2EEEENSI_IJLi1EEEEEEENS4_IJNSI_IJLi1ELi2EEEENSI_IJLi3ELi4EEEENSI_IJLi5EEEEEEENSI_IJLi3ELi5ELi4EEEElEENS3_INS4_IJNS5_IS6_NS4_IJS8_iEEELb0EEESE_SG_EEENS4_IJSJ_SL_SK_EEESQ_SR_lEENS3_INS4_IJSA_SG_SG_EEESW_NS4_IJSN_NSI_IJLi3EEEENSI_IJLi4EEEEEEESO_lEENS_16tensor_operation12element_wise11PassThroughES15_S15_Li16ELi128ELi4ELi16ELi16ELi4ELi1ELi1ENSI_IJLi16ELi16ELi1EEEENSI_IJLi1ELi0ELi2EEEES17_Li2ELi4ELi4ELb0ELb1ELi4ELb0ELi4ENSI_IJLi0ELi2ELi4ELi5ELi6ELi1ELi3ELi7EEEELi7ELi1EEEffSS_SX_S12_S15_S15_S15_NS_13TensorAdaptorINS4_IJNSB_IS6_Lb0EEES1B_NS_23Merge_v2_magic_divisionINS4_IJiiiiEEEEEEEENS4_IJSJ_SL_NSI_IJLi2ELi3ELi4ELi5EEEEEEENS4_IJNSI_IJLi2ELi4EEEENSI_IJLi3ELi5EEEENSI_IJLi6EEEEEEENSI_IJLi0ELi1EEEES1K_EELb0EEEvPKT0_S1Q_PT1_T2_T3_T4_T5_T6_T7_T8_,"axG",@progbits,_ZN2ck32kernel_gemm_xdlops_skip_b_lds_v1INS_48GridwiseGemm_k0mk1_k0nk1_mn_xdlops_skip_b_lds_v1ILi256EfffLNS_25InMemoryDataOperationEnumE0ENS_16TensorDescriptorINS_5TupleIJNS_5EmbedINS4_IJiiEEENS4_IJiNS_17integral_constantIiLi1EEEEEELb0EEENS_7UnMergeINS4_IJiNS7_IiLi4EEEEEELb0EEENS_11PassThroughIiEEEEENS4_IJNS_8SequenceIJLi0EEEENSI_IJLi2EEEENSI_IJLi1EEEEEEENS4_IJNSI_IJLi1ELi2EEEENSI_IJLi3ELi4EEEENSI_IJLi5EEEEEEENSI_IJLi3ELi5ELi4EEEElEENS3_INS4_IJNS5_IS6_NS4_IJS8_iEEELb0EEESE_SG_EEENS4_IJSJ_SL_SK_EEESQ_SR_lEENS3_INS4_IJSA_SG_SG_EEESW_NS4_IJSN_NSI_IJLi3EEEENSI_IJLi4EEEEEEESO_lEENS_16tensor_operation12element_wise11PassThroughES15_S15_Li16ELi128ELi4ELi16ELi16ELi4ELi1ELi1ENSI_IJLi16ELi16ELi1EEEENSI_IJLi1ELi0ELi2EEEES17_Li2ELi4ELi4ELb0ELb1ELi4ELb0ELi4ENSI_IJLi0ELi2ELi4ELi5ELi6ELi1ELi3ELi7EEEELi7ELi1EEEffSS_SX_S12_S15_S15_S15_NS_13TensorAdaptorINS4_IJNSB_IS6_Lb0EEES1B_NS_23Merge_v2_magic_divisionINS4_IJiiiiEEEEEEEENS4_IJSJ_SL_NSI_IJLi2ELi3ELi4ELi5EEEEEEENS4_IJNSI_IJLi2ELi4EEEENSI_IJLi3ELi5EEEENSI_IJLi6EEEEEEENSI_IJLi0ELi1EEEES1K_EELb0EEEvPKT0_S1Q_PT1_T2_T3_T4_T5_T6_T7_T8_,comdat
	.protected	_ZN2ck32kernel_gemm_xdlops_skip_b_lds_v1INS_48GridwiseGemm_k0mk1_k0nk1_mn_xdlops_skip_b_lds_v1ILi256EfffLNS_25InMemoryDataOperationEnumE0ENS_16TensorDescriptorINS_5TupleIJNS_5EmbedINS4_IJiiEEENS4_IJiNS_17integral_constantIiLi1EEEEEELb0EEENS_7UnMergeINS4_IJiNS7_IiLi4EEEEEELb0EEENS_11PassThroughIiEEEEENS4_IJNS_8SequenceIJLi0EEEENSI_IJLi2EEEENSI_IJLi1EEEEEEENS4_IJNSI_IJLi1ELi2EEEENSI_IJLi3ELi4EEEENSI_IJLi5EEEEEEENSI_IJLi3ELi5ELi4EEEElEENS3_INS4_IJNS5_IS6_NS4_IJS8_iEEELb0EEESE_SG_EEENS4_IJSJ_SL_SK_EEESQ_SR_lEENS3_INS4_IJSA_SG_SG_EEESW_NS4_IJSN_NSI_IJLi3EEEENSI_IJLi4EEEEEEESO_lEENS_16tensor_operation12element_wise11PassThroughES15_S15_Li16ELi128ELi4ELi16ELi16ELi4ELi1ELi1ENSI_IJLi16ELi16ELi1EEEENSI_IJLi1ELi0ELi2EEEES17_Li2ELi4ELi4ELb0ELb1ELi4ELb0ELi4ENSI_IJLi0ELi2ELi4ELi5ELi6ELi1ELi3ELi7EEEELi7ELi1EEEffSS_SX_S12_S15_S15_S15_NS_13TensorAdaptorINS4_IJNSB_IS6_Lb0EEES1B_NS_23Merge_v2_magic_divisionINS4_IJiiiiEEEEEEEENS4_IJSJ_SL_NSI_IJLi2ELi3ELi4ELi5EEEEEEENS4_IJNSI_IJLi2ELi4EEEENSI_IJLi3ELi5EEEENSI_IJLi6EEEEEEENSI_IJLi0ELi1EEEES1K_EELb0EEEvPKT0_S1Q_PT1_T2_T3_T4_T5_T6_T7_T8_ ; -- Begin function _ZN2ck32kernel_gemm_xdlops_skip_b_lds_v1INS_48GridwiseGemm_k0mk1_k0nk1_mn_xdlops_skip_b_lds_v1ILi256EfffLNS_25InMemoryDataOperationEnumE0ENS_16TensorDescriptorINS_5TupleIJNS_5EmbedINS4_IJiiEEENS4_IJiNS_17integral_constantIiLi1EEEEEELb0EEENS_7UnMergeINS4_IJiNS7_IiLi4EEEEEELb0EEENS_11PassThroughIiEEEEENS4_IJNS_8SequenceIJLi0EEEENSI_IJLi2EEEENSI_IJLi1EEEEEEENS4_IJNSI_IJLi1ELi2EEEENSI_IJLi3ELi4EEEENSI_IJLi5EEEEEEENSI_IJLi3ELi5ELi4EEEElEENS3_INS4_IJNS5_IS6_NS4_IJS8_iEEELb0EEESE_SG_EEENS4_IJSJ_SL_SK_EEESQ_SR_lEENS3_INS4_IJSA_SG_SG_EEESW_NS4_IJSN_NSI_IJLi3EEEENSI_IJLi4EEEEEEESO_lEENS_16tensor_operation12element_wise11PassThroughES15_S15_Li16ELi128ELi4ELi16ELi16ELi4ELi1ELi1ENSI_IJLi16ELi16ELi1EEEENSI_IJLi1ELi0ELi2EEEES17_Li2ELi4ELi4ELb0ELb1ELi4ELb0ELi4ENSI_IJLi0ELi2ELi4ELi5ELi6ELi1ELi3ELi7EEEELi7ELi1EEEffSS_SX_S12_S15_S15_S15_NS_13TensorAdaptorINS4_IJNSB_IS6_Lb0EEES1B_NS_23Merge_v2_magic_divisionINS4_IJiiiiEEEEEEEENS4_IJSJ_SL_NSI_IJLi2ELi3ELi4ELi5EEEEEEENS4_IJNSI_IJLi2ELi4EEEENSI_IJLi3ELi5EEEENSI_IJLi6EEEEEEENSI_IJLi0ELi1EEEES1K_EELb0EEEvPKT0_S1Q_PT1_T2_T3_T4_T5_T6_T7_T8_
	.globl	_ZN2ck32kernel_gemm_xdlops_skip_b_lds_v1INS_48GridwiseGemm_k0mk1_k0nk1_mn_xdlops_skip_b_lds_v1ILi256EfffLNS_25InMemoryDataOperationEnumE0ENS_16TensorDescriptorINS_5TupleIJNS_5EmbedINS4_IJiiEEENS4_IJiNS_17integral_constantIiLi1EEEEEELb0EEENS_7UnMergeINS4_IJiNS7_IiLi4EEEEEELb0EEENS_11PassThroughIiEEEEENS4_IJNS_8SequenceIJLi0EEEENSI_IJLi2EEEENSI_IJLi1EEEEEEENS4_IJNSI_IJLi1ELi2EEEENSI_IJLi3ELi4EEEENSI_IJLi5EEEEEEENSI_IJLi3ELi5ELi4EEEElEENS3_INS4_IJNS5_IS6_NS4_IJS8_iEEELb0EEESE_SG_EEENS4_IJSJ_SL_SK_EEESQ_SR_lEENS3_INS4_IJSA_SG_SG_EEESW_NS4_IJSN_NSI_IJLi3EEEENSI_IJLi4EEEEEEESO_lEENS_16tensor_operation12element_wise11PassThroughES15_S15_Li16ELi128ELi4ELi16ELi16ELi4ELi1ELi1ENSI_IJLi16ELi16ELi1EEEENSI_IJLi1ELi0ELi2EEEES17_Li2ELi4ELi4ELb0ELb1ELi4ELb0ELi4ENSI_IJLi0ELi2ELi4ELi5ELi6ELi1ELi3ELi7EEEELi7ELi1EEEffSS_SX_S12_S15_S15_S15_NS_13TensorAdaptorINS4_IJNSB_IS6_Lb0EEES1B_NS_23Merge_v2_magic_divisionINS4_IJiiiiEEEEEEEENS4_IJSJ_SL_NSI_IJLi2ELi3ELi4ELi5EEEEEEENS4_IJNSI_IJLi2ELi4EEEENSI_IJLi3ELi5EEEENSI_IJLi6EEEEEEENSI_IJLi0ELi1EEEES1K_EELb0EEEvPKT0_S1Q_PT1_T2_T3_T4_T5_T6_T7_T8_
	.p2align	8
	.type	_ZN2ck32kernel_gemm_xdlops_skip_b_lds_v1INS_48GridwiseGemm_k0mk1_k0nk1_mn_xdlops_skip_b_lds_v1ILi256EfffLNS_25InMemoryDataOperationEnumE0ENS_16TensorDescriptorINS_5TupleIJNS_5EmbedINS4_IJiiEEENS4_IJiNS_17integral_constantIiLi1EEEEEELb0EEENS_7UnMergeINS4_IJiNS7_IiLi4EEEEEELb0EEENS_11PassThroughIiEEEEENS4_IJNS_8SequenceIJLi0EEEENSI_IJLi2EEEENSI_IJLi1EEEEEEENS4_IJNSI_IJLi1ELi2EEEENSI_IJLi3ELi4EEEENSI_IJLi5EEEEEEENSI_IJLi3ELi5ELi4EEEElEENS3_INS4_IJNS5_IS6_NS4_IJS8_iEEELb0EEESE_SG_EEENS4_IJSJ_SL_SK_EEESQ_SR_lEENS3_INS4_IJSA_SG_SG_EEESW_NS4_IJSN_NSI_IJLi3EEEENSI_IJLi4EEEEEEESO_lEENS_16tensor_operation12element_wise11PassThroughES15_S15_Li16ELi128ELi4ELi16ELi16ELi4ELi1ELi1ENSI_IJLi16ELi16ELi1EEEENSI_IJLi1ELi0ELi2EEEES17_Li2ELi4ELi4ELb0ELb1ELi4ELb0ELi4ENSI_IJLi0ELi2ELi4ELi5ELi6ELi1ELi3ELi7EEEELi7ELi1EEEffSS_SX_S12_S15_S15_S15_NS_13TensorAdaptorINS4_IJNSB_IS6_Lb0EEES1B_NS_23Merge_v2_magic_divisionINS4_IJiiiiEEEEEEEENS4_IJSJ_SL_NSI_IJLi2ELi3ELi4ELi5EEEEEEENS4_IJNSI_IJLi2ELi4EEEENSI_IJLi3ELi5EEEENSI_IJLi6EEEEEEENSI_IJLi0ELi1EEEES1K_EELb0EEEvPKT0_S1Q_PT1_T2_T3_T4_T5_T6_T7_T8_,@function
_ZN2ck32kernel_gemm_xdlops_skip_b_lds_v1INS_48GridwiseGemm_k0mk1_k0nk1_mn_xdlops_skip_b_lds_v1ILi256EfffLNS_25InMemoryDataOperationEnumE0ENS_16TensorDescriptorINS_5TupleIJNS_5EmbedINS4_IJiiEEENS4_IJiNS_17integral_constantIiLi1EEEEEELb0EEENS_7UnMergeINS4_IJiNS7_IiLi4EEEEEELb0EEENS_11PassThroughIiEEEEENS4_IJNS_8SequenceIJLi0EEEENSI_IJLi2EEEENSI_IJLi1EEEEEEENS4_IJNSI_IJLi1ELi2EEEENSI_IJLi3ELi4EEEENSI_IJLi5EEEEEEENSI_IJLi3ELi5ELi4EEEElEENS3_INS4_IJNS5_IS6_NS4_IJS8_iEEELb0EEESE_SG_EEENS4_IJSJ_SL_SK_EEESQ_SR_lEENS3_INS4_IJSA_SG_SG_EEESW_NS4_IJSN_NSI_IJLi3EEEENSI_IJLi4EEEEEEESO_lEENS_16tensor_operation12element_wise11PassThroughES15_S15_Li16ELi128ELi4ELi16ELi16ELi4ELi1ELi1ENSI_IJLi16ELi16ELi1EEEENSI_IJLi1ELi0ELi2EEEES17_Li2ELi4ELi4ELb0ELb1ELi4ELb0ELi4ENSI_IJLi0ELi2ELi4ELi5ELi6ELi1ELi3ELi7EEEELi7ELi1EEEffSS_SX_S12_S15_S15_S15_NS_13TensorAdaptorINS4_IJNSB_IS6_Lb0EEES1B_NS_23Merge_v2_magic_divisionINS4_IJiiiiEEEEEEEENS4_IJSJ_SL_NSI_IJLi2ELi3ELi4ELi5EEEEEEENS4_IJNSI_IJLi2ELi4EEEENSI_IJLi3ELi5EEEENSI_IJLi6EEEEEEENSI_IJLi0ELi1EEEES1K_EELb0EEEvPKT0_S1Q_PT1_T2_T3_T4_T5_T6_T7_T8_: ; @_ZN2ck32kernel_gemm_xdlops_skip_b_lds_v1INS_48GridwiseGemm_k0mk1_k0nk1_mn_xdlops_skip_b_lds_v1ILi256EfffLNS_25InMemoryDataOperationEnumE0ENS_16TensorDescriptorINS_5TupleIJNS_5EmbedINS4_IJiiEEENS4_IJiNS_17integral_constantIiLi1EEEEEELb0EEENS_7UnMergeINS4_IJiNS7_IiLi4EEEEEELb0EEENS_11PassThroughIiEEEEENS4_IJNS_8SequenceIJLi0EEEENSI_IJLi2EEEENSI_IJLi1EEEEEEENS4_IJNSI_IJLi1ELi2EEEENSI_IJLi3ELi4EEEENSI_IJLi5EEEEEEENSI_IJLi3ELi5ELi4EEEElEENS3_INS4_IJNS5_IS6_NS4_IJS8_iEEELb0EEESE_SG_EEENS4_IJSJ_SL_SK_EEESQ_SR_lEENS3_INS4_IJSA_SG_SG_EEESW_NS4_IJSN_NSI_IJLi3EEEENSI_IJLi4EEEEEEESO_lEENS_16tensor_operation12element_wise11PassThroughES15_S15_Li16ELi128ELi4ELi16ELi16ELi4ELi1ELi1ENSI_IJLi16ELi16ELi1EEEENSI_IJLi1ELi0ELi2EEEES17_Li2ELi4ELi4ELb0ELb1ELi4ELb0ELi4ENSI_IJLi0ELi2ELi4ELi5ELi6ELi1ELi3ELi7EEEELi7ELi1EEEffSS_SX_S12_S15_S15_S15_NS_13TensorAdaptorINS4_IJNSB_IS6_Lb0EEES1B_NS_23Merge_v2_magic_divisionINS4_IJiiiiEEEEEEEENS4_IJSJ_SL_NSI_IJLi2ELi3ELi4ELi5EEEEEEENS4_IJNSI_IJLi2ELi4EEEENSI_IJLi3ELi5EEEENSI_IJLi6EEEEEEENSI_IJLi0ELi1EEEES1K_EELb0EEEvPKT0_S1Q_PT1_T2_T3_T4_T5_T6_T7_T8_
; %bb.0:
	s_endpgm
	.section	.rodata,"a",@progbits
	.p2align	6, 0x0
	.amdhsa_kernel _ZN2ck32kernel_gemm_xdlops_skip_b_lds_v1INS_48GridwiseGemm_k0mk1_k0nk1_mn_xdlops_skip_b_lds_v1ILi256EfffLNS_25InMemoryDataOperationEnumE0ENS_16TensorDescriptorINS_5TupleIJNS_5EmbedINS4_IJiiEEENS4_IJiNS_17integral_constantIiLi1EEEEEELb0EEENS_7UnMergeINS4_IJiNS7_IiLi4EEEEEELb0EEENS_11PassThroughIiEEEEENS4_IJNS_8SequenceIJLi0EEEENSI_IJLi2EEEENSI_IJLi1EEEEEEENS4_IJNSI_IJLi1ELi2EEEENSI_IJLi3ELi4EEEENSI_IJLi5EEEEEEENSI_IJLi3ELi5ELi4EEEElEENS3_INS4_IJNS5_IS6_NS4_IJS8_iEEELb0EEESE_SG_EEENS4_IJSJ_SL_SK_EEESQ_SR_lEENS3_INS4_IJSA_SG_SG_EEESW_NS4_IJSN_NSI_IJLi3EEEENSI_IJLi4EEEEEEESO_lEENS_16tensor_operation12element_wise11PassThroughES15_S15_Li16ELi128ELi4ELi16ELi16ELi4ELi1ELi1ENSI_IJLi16ELi16ELi1EEEENSI_IJLi1ELi0ELi2EEEES17_Li2ELi4ELi4ELb0ELb1ELi4ELb0ELi4ENSI_IJLi0ELi2ELi4ELi5ELi6ELi1ELi3ELi7EEEELi7ELi1EEEffSS_SX_S12_S15_S15_S15_NS_13TensorAdaptorINS4_IJNSB_IS6_Lb0EEES1B_NS_23Merge_v2_magic_divisionINS4_IJiiiiEEEEEEEENS4_IJSJ_SL_NSI_IJLi2ELi3ELi4ELi5EEEEEEENS4_IJNSI_IJLi2ELi4EEEENSI_IJLi3ELi5EEEENSI_IJLi6EEEEEEENSI_IJLi0ELi1EEEES1K_EELb0EEEvPKT0_S1Q_PT1_T2_T3_T4_T5_T6_T7_T8_
		.amdhsa_group_segment_fixed_size 0
		.amdhsa_private_segment_fixed_size 0
		.amdhsa_kernarg_size 252
		.amdhsa_user_sgpr_count 6
		.amdhsa_user_sgpr_private_segment_buffer 1
		.amdhsa_user_sgpr_dispatch_ptr 0
		.amdhsa_user_sgpr_queue_ptr 0
		.amdhsa_user_sgpr_kernarg_segment_ptr 1
		.amdhsa_user_sgpr_dispatch_id 0
		.amdhsa_user_sgpr_flat_scratch_init 0
		.amdhsa_user_sgpr_private_segment_size 0
		.amdhsa_uses_dynamic_stack 0
		.amdhsa_system_sgpr_private_segment_wavefront_offset 0
		.amdhsa_system_sgpr_workgroup_id_x 1
		.amdhsa_system_sgpr_workgroup_id_y 0
		.amdhsa_system_sgpr_workgroup_id_z 0
		.amdhsa_system_sgpr_workgroup_info 0
		.amdhsa_system_vgpr_workitem_id 0
		.amdhsa_next_free_vgpr 1
		.amdhsa_next_free_sgpr 0
		.amdhsa_reserve_vcc 0
		.amdhsa_reserve_flat_scratch 0
		.amdhsa_float_round_mode_32 0
		.amdhsa_float_round_mode_16_64 0
		.amdhsa_float_denorm_mode_32 3
		.amdhsa_float_denorm_mode_16_64 3
		.amdhsa_dx10_clamp 1
		.amdhsa_ieee_mode 1
		.amdhsa_fp16_overflow 0
		.amdhsa_exception_fp_ieee_invalid_op 0
		.amdhsa_exception_fp_denorm_src 0
		.amdhsa_exception_fp_ieee_div_zero 0
		.amdhsa_exception_fp_ieee_overflow 0
		.amdhsa_exception_fp_ieee_underflow 0
		.amdhsa_exception_fp_ieee_inexact 0
		.amdhsa_exception_int_div_zero 0
	.end_amdhsa_kernel
	.section	.text._ZN2ck32kernel_gemm_xdlops_skip_b_lds_v1INS_48GridwiseGemm_k0mk1_k0nk1_mn_xdlops_skip_b_lds_v1ILi256EfffLNS_25InMemoryDataOperationEnumE0ENS_16TensorDescriptorINS_5TupleIJNS_5EmbedINS4_IJiiEEENS4_IJiNS_17integral_constantIiLi1EEEEEELb0EEENS_7UnMergeINS4_IJiNS7_IiLi4EEEEEELb0EEENS_11PassThroughIiEEEEENS4_IJNS_8SequenceIJLi0EEEENSI_IJLi2EEEENSI_IJLi1EEEEEEENS4_IJNSI_IJLi1ELi2EEEENSI_IJLi3ELi4EEEENSI_IJLi5EEEEEEENSI_IJLi3ELi5ELi4EEEElEENS3_INS4_IJNS5_IS6_NS4_IJS8_iEEELb0EEESE_SG_EEENS4_IJSJ_SL_SK_EEESQ_SR_lEENS3_INS4_IJSA_SG_SG_EEESW_NS4_IJSN_NSI_IJLi3EEEENSI_IJLi4EEEEEEESO_lEENS_16tensor_operation12element_wise11PassThroughES15_S15_Li16ELi128ELi4ELi16ELi16ELi4ELi1ELi1ENSI_IJLi16ELi16ELi1EEEENSI_IJLi1ELi0ELi2EEEES17_Li2ELi4ELi4ELb0ELb1ELi4ELb0ELi4ENSI_IJLi0ELi2ELi4ELi5ELi6ELi1ELi3ELi7EEEELi7ELi1EEEffSS_SX_S12_S15_S15_S15_NS_13TensorAdaptorINS4_IJNSB_IS6_Lb0EEES1B_NS_23Merge_v2_magic_divisionINS4_IJiiiiEEEEEEEENS4_IJSJ_SL_NSI_IJLi2ELi3ELi4ELi5EEEEEEENS4_IJNSI_IJLi2ELi4EEEENSI_IJLi3ELi5EEEENSI_IJLi6EEEEEEENSI_IJLi0ELi1EEEES1K_EELb0EEEvPKT0_S1Q_PT1_T2_T3_T4_T5_T6_T7_T8_,"axG",@progbits,_ZN2ck32kernel_gemm_xdlops_skip_b_lds_v1INS_48GridwiseGemm_k0mk1_k0nk1_mn_xdlops_skip_b_lds_v1ILi256EfffLNS_25InMemoryDataOperationEnumE0ENS_16TensorDescriptorINS_5TupleIJNS_5EmbedINS4_IJiiEEENS4_IJiNS_17integral_constantIiLi1EEEEEELb0EEENS_7UnMergeINS4_IJiNS7_IiLi4EEEEEELb0EEENS_11PassThroughIiEEEEENS4_IJNS_8SequenceIJLi0EEEENSI_IJLi2EEEENSI_IJLi1EEEEEEENS4_IJNSI_IJLi1ELi2EEEENSI_IJLi3ELi4EEEENSI_IJLi5EEEEEEENSI_IJLi3ELi5ELi4EEEElEENS3_INS4_IJNS5_IS6_NS4_IJS8_iEEELb0EEESE_SG_EEENS4_IJSJ_SL_SK_EEESQ_SR_lEENS3_INS4_IJSA_SG_SG_EEESW_NS4_IJSN_NSI_IJLi3EEEENSI_IJLi4EEEEEEESO_lEENS_16tensor_operation12element_wise11PassThroughES15_S15_Li16ELi128ELi4ELi16ELi16ELi4ELi1ELi1ENSI_IJLi16ELi16ELi1EEEENSI_IJLi1ELi0ELi2EEEES17_Li2ELi4ELi4ELb0ELb1ELi4ELb0ELi4ENSI_IJLi0ELi2ELi4ELi5ELi6ELi1ELi3ELi7EEEELi7ELi1EEEffSS_SX_S12_S15_S15_S15_NS_13TensorAdaptorINS4_IJNSB_IS6_Lb0EEES1B_NS_23Merge_v2_magic_divisionINS4_IJiiiiEEEEEEEENS4_IJSJ_SL_NSI_IJLi2ELi3ELi4ELi5EEEEEEENS4_IJNSI_IJLi2ELi4EEEENSI_IJLi3ELi5EEEENSI_IJLi6EEEEEEENSI_IJLi0ELi1EEEES1K_EELb0EEEvPKT0_S1Q_PT1_T2_T3_T4_T5_T6_T7_T8_,comdat
.Lfunc_end4:
	.size	_ZN2ck32kernel_gemm_xdlops_skip_b_lds_v1INS_48GridwiseGemm_k0mk1_k0nk1_mn_xdlops_skip_b_lds_v1ILi256EfffLNS_25InMemoryDataOperationEnumE0ENS_16TensorDescriptorINS_5TupleIJNS_5EmbedINS4_IJiiEEENS4_IJiNS_17integral_constantIiLi1EEEEEELb0EEENS_7UnMergeINS4_IJiNS7_IiLi4EEEEEELb0EEENS_11PassThroughIiEEEEENS4_IJNS_8SequenceIJLi0EEEENSI_IJLi2EEEENSI_IJLi1EEEEEEENS4_IJNSI_IJLi1ELi2EEEENSI_IJLi3ELi4EEEENSI_IJLi5EEEEEEENSI_IJLi3ELi5ELi4EEEElEENS3_INS4_IJNS5_IS6_NS4_IJS8_iEEELb0EEESE_SG_EEENS4_IJSJ_SL_SK_EEESQ_SR_lEENS3_INS4_IJSA_SG_SG_EEESW_NS4_IJSN_NSI_IJLi3EEEENSI_IJLi4EEEEEEESO_lEENS_16tensor_operation12element_wise11PassThroughES15_S15_Li16ELi128ELi4ELi16ELi16ELi4ELi1ELi1ENSI_IJLi16ELi16ELi1EEEENSI_IJLi1ELi0ELi2EEEES17_Li2ELi4ELi4ELb0ELb1ELi4ELb0ELi4ENSI_IJLi0ELi2ELi4ELi5ELi6ELi1ELi3ELi7EEEELi7ELi1EEEffSS_SX_S12_S15_S15_S15_NS_13TensorAdaptorINS4_IJNSB_IS6_Lb0EEES1B_NS_23Merge_v2_magic_divisionINS4_IJiiiiEEEEEEEENS4_IJSJ_SL_NSI_IJLi2ELi3ELi4ELi5EEEEEEENS4_IJNSI_IJLi2ELi4EEEENSI_IJLi3ELi5EEEENSI_IJLi6EEEEEEENSI_IJLi0ELi1EEEES1K_EELb0EEEvPKT0_S1Q_PT1_T2_T3_T4_T5_T6_T7_T8_, .Lfunc_end4-_ZN2ck32kernel_gemm_xdlops_skip_b_lds_v1INS_48GridwiseGemm_k0mk1_k0nk1_mn_xdlops_skip_b_lds_v1ILi256EfffLNS_25InMemoryDataOperationEnumE0ENS_16TensorDescriptorINS_5TupleIJNS_5EmbedINS4_IJiiEEENS4_IJiNS_17integral_constantIiLi1EEEEEELb0EEENS_7UnMergeINS4_IJiNS7_IiLi4EEEEEELb0EEENS_11PassThroughIiEEEEENS4_IJNS_8SequenceIJLi0EEEENSI_IJLi2EEEENSI_IJLi1EEEEEEENS4_IJNSI_IJLi1ELi2EEEENSI_IJLi3ELi4EEEENSI_IJLi5EEEEEEENSI_IJLi3ELi5ELi4EEEElEENS3_INS4_IJNS5_IS6_NS4_IJS8_iEEELb0EEESE_SG_EEENS4_IJSJ_SL_SK_EEESQ_SR_lEENS3_INS4_IJSA_SG_SG_EEESW_NS4_IJSN_NSI_IJLi3EEEENSI_IJLi4EEEEEEESO_lEENS_16tensor_operation12element_wise11PassThroughES15_S15_Li16ELi128ELi4ELi16ELi16ELi4ELi1ELi1ENSI_IJLi16ELi16ELi1EEEENSI_IJLi1ELi0ELi2EEEES17_Li2ELi4ELi4ELb0ELb1ELi4ELb0ELi4ENSI_IJLi0ELi2ELi4ELi5ELi6ELi1ELi3ELi7EEEELi7ELi1EEEffSS_SX_S12_S15_S15_S15_NS_13TensorAdaptorINS4_IJNSB_IS6_Lb0EEES1B_NS_23Merge_v2_magic_divisionINS4_IJiiiiEEEEEEEENS4_IJSJ_SL_NSI_IJLi2ELi3ELi4ELi5EEEEEEENS4_IJNSI_IJLi2ELi4EEEENSI_IJLi3ELi5EEEENSI_IJLi6EEEEEEENSI_IJLi0ELi1EEEES1K_EELb0EEEvPKT0_S1Q_PT1_T2_T3_T4_T5_T6_T7_T8_
                                        ; -- End function
	.set _ZN2ck32kernel_gemm_xdlops_skip_b_lds_v1INS_48GridwiseGemm_k0mk1_k0nk1_mn_xdlops_skip_b_lds_v1ILi256EfffLNS_25InMemoryDataOperationEnumE0ENS_16TensorDescriptorINS_5TupleIJNS_5EmbedINS4_IJiiEEENS4_IJiNS_17integral_constantIiLi1EEEEEELb0EEENS_7UnMergeINS4_IJiNS7_IiLi4EEEEEELb0EEENS_11PassThroughIiEEEEENS4_IJNS_8SequenceIJLi0EEEENSI_IJLi2EEEENSI_IJLi1EEEEEEENS4_IJNSI_IJLi1ELi2EEEENSI_IJLi3ELi4EEEENSI_IJLi5EEEEEEENSI_IJLi3ELi5ELi4EEEElEENS3_INS4_IJNS5_IS6_NS4_IJS8_iEEELb0EEESE_SG_EEENS4_IJSJ_SL_SK_EEESQ_SR_lEENS3_INS4_IJSA_SG_SG_EEESW_NS4_IJSN_NSI_IJLi3EEEENSI_IJLi4EEEEEEESO_lEENS_16tensor_operation12element_wise11PassThroughES15_S15_Li16ELi128ELi4ELi16ELi16ELi4ELi1ELi1ENSI_IJLi16ELi16ELi1EEEENSI_IJLi1ELi0ELi2EEEES17_Li2ELi4ELi4ELb0ELb1ELi4ELb0ELi4ENSI_IJLi0ELi2ELi4ELi5ELi6ELi1ELi3ELi7EEEELi7ELi1EEEffSS_SX_S12_S15_S15_S15_NS_13TensorAdaptorINS4_IJNSB_IS6_Lb0EEES1B_NS_23Merge_v2_magic_divisionINS4_IJiiiiEEEEEEEENS4_IJSJ_SL_NSI_IJLi2ELi3ELi4ELi5EEEEEEENS4_IJNSI_IJLi2ELi4EEEENSI_IJLi3ELi5EEEENSI_IJLi6EEEEEEENSI_IJLi0ELi1EEEES1K_EELb0EEEvPKT0_S1Q_PT1_T2_T3_T4_T5_T6_T7_T8_.num_vgpr, 0
	.set _ZN2ck32kernel_gemm_xdlops_skip_b_lds_v1INS_48GridwiseGemm_k0mk1_k0nk1_mn_xdlops_skip_b_lds_v1ILi256EfffLNS_25InMemoryDataOperationEnumE0ENS_16TensorDescriptorINS_5TupleIJNS_5EmbedINS4_IJiiEEENS4_IJiNS_17integral_constantIiLi1EEEEEELb0EEENS_7UnMergeINS4_IJiNS7_IiLi4EEEEEELb0EEENS_11PassThroughIiEEEEENS4_IJNS_8SequenceIJLi0EEEENSI_IJLi2EEEENSI_IJLi1EEEEEEENS4_IJNSI_IJLi1ELi2EEEENSI_IJLi3ELi4EEEENSI_IJLi5EEEEEEENSI_IJLi3ELi5ELi4EEEElEENS3_INS4_IJNS5_IS6_NS4_IJS8_iEEELb0EEESE_SG_EEENS4_IJSJ_SL_SK_EEESQ_SR_lEENS3_INS4_IJSA_SG_SG_EEESW_NS4_IJSN_NSI_IJLi3EEEENSI_IJLi4EEEEEEESO_lEENS_16tensor_operation12element_wise11PassThroughES15_S15_Li16ELi128ELi4ELi16ELi16ELi4ELi1ELi1ENSI_IJLi16ELi16ELi1EEEENSI_IJLi1ELi0ELi2EEEES17_Li2ELi4ELi4ELb0ELb1ELi4ELb0ELi4ENSI_IJLi0ELi2ELi4ELi5ELi6ELi1ELi3ELi7EEEELi7ELi1EEEffSS_SX_S12_S15_S15_S15_NS_13TensorAdaptorINS4_IJNSB_IS6_Lb0EEES1B_NS_23Merge_v2_magic_divisionINS4_IJiiiiEEEEEEEENS4_IJSJ_SL_NSI_IJLi2ELi3ELi4ELi5EEEEEEENS4_IJNSI_IJLi2ELi4EEEENSI_IJLi3ELi5EEEENSI_IJLi6EEEEEEENSI_IJLi0ELi1EEEES1K_EELb0EEEvPKT0_S1Q_PT1_T2_T3_T4_T5_T6_T7_T8_.num_agpr, 0
	.set _ZN2ck32kernel_gemm_xdlops_skip_b_lds_v1INS_48GridwiseGemm_k0mk1_k0nk1_mn_xdlops_skip_b_lds_v1ILi256EfffLNS_25InMemoryDataOperationEnumE0ENS_16TensorDescriptorINS_5TupleIJNS_5EmbedINS4_IJiiEEENS4_IJiNS_17integral_constantIiLi1EEEEEELb0EEENS_7UnMergeINS4_IJiNS7_IiLi4EEEEEELb0EEENS_11PassThroughIiEEEEENS4_IJNS_8SequenceIJLi0EEEENSI_IJLi2EEEENSI_IJLi1EEEEEEENS4_IJNSI_IJLi1ELi2EEEENSI_IJLi3ELi4EEEENSI_IJLi5EEEEEEENSI_IJLi3ELi5ELi4EEEElEENS3_INS4_IJNS5_IS6_NS4_IJS8_iEEELb0EEESE_SG_EEENS4_IJSJ_SL_SK_EEESQ_SR_lEENS3_INS4_IJSA_SG_SG_EEESW_NS4_IJSN_NSI_IJLi3EEEENSI_IJLi4EEEEEEESO_lEENS_16tensor_operation12element_wise11PassThroughES15_S15_Li16ELi128ELi4ELi16ELi16ELi4ELi1ELi1ENSI_IJLi16ELi16ELi1EEEENSI_IJLi1ELi0ELi2EEEES17_Li2ELi4ELi4ELb0ELb1ELi4ELb0ELi4ENSI_IJLi0ELi2ELi4ELi5ELi6ELi1ELi3ELi7EEEELi7ELi1EEEffSS_SX_S12_S15_S15_S15_NS_13TensorAdaptorINS4_IJNSB_IS6_Lb0EEES1B_NS_23Merge_v2_magic_divisionINS4_IJiiiiEEEEEEEENS4_IJSJ_SL_NSI_IJLi2ELi3ELi4ELi5EEEEEEENS4_IJNSI_IJLi2ELi4EEEENSI_IJLi3ELi5EEEENSI_IJLi6EEEEEEENSI_IJLi0ELi1EEEES1K_EELb0EEEvPKT0_S1Q_PT1_T2_T3_T4_T5_T6_T7_T8_.numbered_sgpr, 0
	.set _ZN2ck32kernel_gemm_xdlops_skip_b_lds_v1INS_48GridwiseGemm_k0mk1_k0nk1_mn_xdlops_skip_b_lds_v1ILi256EfffLNS_25InMemoryDataOperationEnumE0ENS_16TensorDescriptorINS_5TupleIJNS_5EmbedINS4_IJiiEEENS4_IJiNS_17integral_constantIiLi1EEEEEELb0EEENS_7UnMergeINS4_IJiNS7_IiLi4EEEEEELb0EEENS_11PassThroughIiEEEEENS4_IJNS_8SequenceIJLi0EEEENSI_IJLi2EEEENSI_IJLi1EEEEEEENS4_IJNSI_IJLi1ELi2EEEENSI_IJLi3ELi4EEEENSI_IJLi5EEEEEEENSI_IJLi3ELi5ELi4EEEElEENS3_INS4_IJNS5_IS6_NS4_IJS8_iEEELb0EEESE_SG_EEENS4_IJSJ_SL_SK_EEESQ_SR_lEENS3_INS4_IJSA_SG_SG_EEESW_NS4_IJSN_NSI_IJLi3EEEENSI_IJLi4EEEEEEESO_lEENS_16tensor_operation12element_wise11PassThroughES15_S15_Li16ELi128ELi4ELi16ELi16ELi4ELi1ELi1ENSI_IJLi16ELi16ELi1EEEENSI_IJLi1ELi0ELi2EEEES17_Li2ELi4ELi4ELb0ELb1ELi4ELb0ELi4ENSI_IJLi0ELi2ELi4ELi5ELi6ELi1ELi3ELi7EEEELi7ELi1EEEffSS_SX_S12_S15_S15_S15_NS_13TensorAdaptorINS4_IJNSB_IS6_Lb0EEES1B_NS_23Merge_v2_magic_divisionINS4_IJiiiiEEEEEEEENS4_IJSJ_SL_NSI_IJLi2ELi3ELi4ELi5EEEEEEENS4_IJNSI_IJLi2ELi4EEEENSI_IJLi3ELi5EEEENSI_IJLi6EEEEEEENSI_IJLi0ELi1EEEES1K_EELb0EEEvPKT0_S1Q_PT1_T2_T3_T4_T5_T6_T7_T8_.num_named_barrier, 0
	.set _ZN2ck32kernel_gemm_xdlops_skip_b_lds_v1INS_48GridwiseGemm_k0mk1_k0nk1_mn_xdlops_skip_b_lds_v1ILi256EfffLNS_25InMemoryDataOperationEnumE0ENS_16TensorDescriptorINS_5TupleIJNS_5EmbedINS4_IJiiEEENS4_IJiNS_17integral_constantIiLi1EEEEEELb0EEENS_7UnMergeINS4_IJiNS7_IiLi4EEEEEELb0EEENS_11PassThroughIiEEEEENS4_IJNS_8SequenceIJLi0EEEENSI_IJLi2EEEENSI_IJLi1EEEEEEENS4_IJNSI_IJLi1ELi2EEEENSI_IJLi3ELi4EEEENSI_IJLi5EEEEEEENSI_IJLi3ELi5ELi4EEEElEENS3_INS4_IJNS5_IS6_NS4_IJS8_iEEELb0EEESE_SG_EEENS4_IJSJ_SL_SK_EEESQ_SR_lEENS3_INS4_IJSA_SG_SG_EEESW_NS4_IJSN_NSI_IJLi3EEEENSI_IJLi4EEEEEEESO_lEENS_16tensor_operation12element_wise11PassThroughES15_S15_Li16ELi128ELi4ELi16ELi16ELi4ELi1ELi1ENSI_IJLi16ELi16ELi1EEEENSI_IJLi1ELi0ELi2EEEES17_Li2ELi4ELi4ELb0ELb1ELi4ELb0ELi4ENSI_IJLi0ELi2ELi4ELi5ELi6ELi1ELi3ELi7EEEELi7ELi1EEEffSS_SX_S12_S15_S15_S15_NS_13TensorAdaptorINS4_IJNSB_IS6_Lb0EEES1B_NS_23Merge_v2_magic_divisionINS4_IJiiiiEEEEEEEENS4_IJSJ_SL_NSI_IJLi2ELi3ELi4ELi5EEEEEEENS4_IJNSI_IJLi2ELi4EEEENSI_IJLi3ELi5EEEENSI_IJLi6EEEEEEENSI_IJLi0ELi1EEEES1K_EELb0EEEvPKT0_S1Q_PT1_T2_T3_T4_T5_T6_T7_T8_.private_seg_size, 0
	.set _ZN2ck32kernel_gemm_xdlops_skip_b_lds_v1INS_48GridwiseGemm_k0mk1_k0nk1_mn_xdlops_skip_b_lds_v1ILi256EfffLNS_25InMemoryDataOperationEnumE0ENS_16TensorDescriptorINS_5TupleIJNS_5EmbedINS4_IJiiEEENS4_IJiNS_17integral_constantIiLi1EEEEEELb0EEENS_7UnMergeINS4_IJiNS7_IiLi4EEEEEELb0EEENS_11PassThroughIiEEEEENS4_IJNS_8SequenceIJLi0EEEENSI_IJLi2EEEENSI_IJLi1EEEEEEENS4_IJNSI_IJLi1ELi2EEEENSI_IJLi3ELi4EEEENSI_IJLi5EEEEEEENSI_IJLi3ELi5ELi4EEEElEENS3_INS4_IJNS5_IS6_NS4_IJS8_iEEELb0EEESE_SG_EEENS4_IJSJ_SL_SK_EEESQ_SR_lEENS3_INS4_IJSA_SG_SG_EEESW_NS4_IJSN_NSI_IJLi3EEEENSI_IJLi4EEEEEEESO_lEENS_16tensor_operation12element_wise11PassThroughES15_S15_Li16ELi128ELi4ELi16ELi16ELi4ELi1ELi1ENSI_IJLi16ELi16ELi1EEEENSI_IJLi1ELi0ELi2EEEES17_Li2ELi4ELi4ELb0ELb1ELi4ELb0ELi4ENSI_IJLi0ELi2ELi4ELi5ELi6ELi1ELi3ELi7EEEELi7ELi1EEEffSS_SX_S12_S15_S15_S15_NS_13TensorAdaptorINS4_IJNSB_IS6_Lb0EEES1B_NS_23Merge_v2_magic_divisionINS4_IJiiiiEEEEEEEENS4_IJSJ_SL_NSI_IJLi2ELi3ELi4ELi5EEEEEEENS4_IJNSI_IJLi2ELi4EEEENSI_IJLi3ELi5EEEENSI_IJLi6EEEEEEENSI_IJLi0ELi1EEEES1K_EELb0EEEvPKT0_S1Q_PT1_T2_T3_T4_T5_T6_T7_T8_.uses_vcc, 0
	.set _ZN2ck32kernel_gemm_xdlops_skip_b_lds_v1INS_48GridwiseGemm_k0mk1_k0nk1_mn_xdlops_skip_b_lds_v1ILi256EfffLNS_25InMemoryDataOperationEnumE0ENS_16TensorDescriptorINS_5TupleIJNS_5EmbedINS4_IJiiEEENS4_IJiNS_17integral_constantIiLi1EEEEEELb0EEENS_7UnMergeINS4_IJiNS7_IiLi4EEEEEELb0EEENS_11PassThroughIiEEEEENS4_IJNS_8SequenceIJLi0EEEENSI_IJLi2EEEENSI_IJLi1EEEEEEENS4_IJNSI_IJLi1ELi2EEEENSI_IJLi3ELi4EEEENSI_IJLi5EEEEEEENSI_IJLi3ELi5ELi4EEEElEENS3_INS4_IJNS5_IS6_NS4_IJS8_iEEELb0EEESE_SG_EEENS4_IJSJ_SL_SK_EEESQ_SR_lEENS3_INS4_IJSA_SG_SG_EEESW_NS4_IJSN_NSI_IJLi3EEEENSI_IJLi4EEEEEEESO_lEENS_16tensor_operation12element_wise11PassThroughES15_S15_Li16ELi128ELi4ELi16ELi16ELi4ELi1ELi1ENSI_IJLi16ELi16ELi1EEEENSI_IJLi1ELi0ELi2EEEES17_Li2ELi4ELi4ELb0ELb1ELi4ELb0ELi4ENSI_IJLi0ELi2ELi4ELi5ELi6ELi1ELi3ELi7EEEELi7ELi1EEEffSS_SX_S12_S15_S15_S15_NS_13TensorAdaptorINS4_IJNSB_IS6_Lb0EEES1B_NS_23Merge_v2_magic_divisionINS4_IJiiiiEEEEEEEENS4_IJSJ_SL_NSI_IJLi2ELi3ELi4ELi5EEEEEEENS4_IJNSI_IJLi2ELi4EEEENSI_IJLi3ELi5EEEENSI_IJLi6EEEEEEENSI_IJLi0ELi1EEEES1K_EELb0EEEvPKT0_S1Q_PT1_T2_T3_T4_T5_T6_T7_T8_.uses_flat_scratch, 0
	.set _ZN2ck32kernel_gemm_xdlops_skip_b_lds_v1INS_48GridwiseGemm_k0mk1_k0nk1_mn_xdlops_skip_b_lds_v1ILi256EfffLNS_25InMemoryDataOperationEnumE0ENS_16TensorDescriptorINS_5TupleIJNS_5EmbedINS4_IJiiEEENS4_IJiNS_17integral_constantIiLi1EEEEEELb0EEENS_7UnMergeINS4_IJiNS7_IiLi4EEEEEELb0EEENS_11PassThroughIiEEEEENS4_IJNS_8SequenceIJLi0EEEENSI_IJLi2EEEENSI_IJLi1EEEEEEENS4_IJNSI_IJLi1ELi2EEEENSI_IJLi3ELi4EEEENSI_IJLi5EEEEEEENSI_IJLi3ELi5ELi4EEEElEENS3_INS4_IJNS5_IS6_NS4_IJS8_iEEELb0EEESE_SG_EEENS4_IJSJ_SL_SK_EEESQ_SR_lEENS3_INS4_IJSA_SG_SG_EEESW_NS4_IJSN_NSI_IJLi3EEEENSI_IJLi4EEEEEEESO_lEENS_16tensor_operation12element_wise11PassThroughES15_S15_Li16ELi128ELi4ELi16ELi16ELi4ELi1ELi1ENSI_IJLi16ELi16ELi1EEEENSI_IJLi1ELi0ELi2EEEES17_Li2ELi4ELi4ELb0ELb1ELi4ELb0ELi4ENSI_IJLi0ELi2ELi4ELi5ELi6ELi1ELi3ELi7EEEELi7ELi1EEEffSS_SX_S12_S15_S15_S15_NS_13TensorAdaptorINS4_IJNSB_IS6_Lb0EEES1B_NS_23Merge_v2_magic_divisionINS4_IJiiiiEEEEEEEENS4_IJSJ_SL_NSI_IJLi2ELi3ELi4ELi5EEEEEEENS4_IJNSI_IJLi2ELi4EEEENSI_IJLi3ELi5EEEENSI_IJLi6EEEEEEENSI_IJLi0ELi1EEEES1K_EELb0EEEvPKT0_S1Q_PT1_T2_T3_T4_T5_T6_T7_T8_.has_dyn_sized_stack, 0
	.set _ZN2ck32kernel_gemm_xdlops_skip_b_lds_v1INS_48GridwiseGemm_k0mk1_k0nk1_mn_xdlops_skip_b_lds_v1ILi256EfffLNS_25InMemoryDataOperationEnumE0ENS_16TensorDescriptorINS_5TupleIJNS_5EmbedINS4_IJiiEEENS4_IJiNS_17integral_constantIiLi1EEEEEELb0EEENS_7UnMergeINS4_IJiNS7_IiLi4EEEEEELb0EEENS_11PassThroughIiEEEEENS4_IJNS_8SequenceIJLi0EEEENSI_IJLi2EEEENSI_IJLi1EEEEEEENS4_IJNSI_IJLi1ELi2EEEENSI_IJLi3ELi4EEEENSI_IJLi5EEEEEEENSI_IJLi3ELi5ELi4EEEElEENS3_INS4_IJNS5_IS6_NS4_IJS8_iEEELb0EEESE_SG_EEENS4_IJSJ_SL_SK_EEESQ_SR_lEENS3_INS4_IJSA_SG_SG_EEESW_NS4_IJSN_NSI_IJLi3EEEENSI_IJLi4EEEEEEESO_lEENS_16tensor_operation12element_wise11PassThroughES15_S15_Li16ELi128ELi4ELi16ELi16ELi4ELi1ELi1ENSI_IJLi16ELi16ELi1EEEENSI_IJLi1ELi0ELi2EEEES17_Li2ELi4ELi4ELb0ELb1ELi4ELb0ELi4ENSI_IJLi0ELi2ELi4ELi5ELi6ELi1ELi3ELi7EEEELi7ELi1EEEffSS_SX_S12_S15_S15_S15_NS_13TensorAdaptorINS4_IJNSB_IS6_Lb0EEES1B_NS_23Merge_v2_magic_divisionINS4_IJiiiiEEEEEEEENS4_IJSJ_SL_NSI_IJLi2ELi3ELi4ELi5EEEEEEENS4_IJNSI_IJLi2ELi4EEEENSI_IJLi3ELi5EEEENSI_IJLi6EEEEEEENSI_IJLi0ELi1EEEES1K_EELb0EEEvPKT0_S1Q_PT1_T2_T3_T4_T5_T6_T7_T8_.has_recursion, 0
	.set _ZN2ck32kernel_gemm_xdlops_skip_b_lds_v1INS_48GridwiseGemm_k0mk1_k0nk1_mn_xdlops_skip_b_lds_v1ILi256EfffLNS_25InMemoryDataOperationEnumE0ENS_16TensorDescriptorINS_5TupleIJNS_5EmbedINS4_IJiiEEENS4_IJiNS_17integral_constantIiLi1EEEEEELb0EEENS_7UnMergeINS4_IJiNS7_IiLi4EEEEEELb0EEENS_11PassThroughIiEEEEENS4_IJNS_8SequenceIJLi0EEEENSI_IJLi2EEEENSI_IJLi1EEEEEEENS4_IJNSI_IJLi1ELi2EEEENSI_IJLi3ELi4EEEENSI_IJLi5EEEEEEENSI_IJLi3ELi5ELi4EEEElEENS3_INS4_IJNS5_IS6_NS4_IJS8_iEEELb0EEESE_SG_EEENS4_IJSJ_SL_SK_EEESQ_SR_lEENS3_INS4_IJSA_SG_SG_EEESW_NS4_IJSN_NSI_IJLi3EEEENSI_IJLi4EEEEEEESO_lEENS_16tensor_operation12element_wise11PassThroughES15_S15_Li16ELi128ELi4ELi16ELi16ELi4ELi1ELi1ENSI_IJLi16ELi16ELi1EEEENSI_IJLi1ELi0ELi2EEEES17_Li2ELi4ELi4ELb0ELb1ELi4ELb0ELi4ENSI_IJLi0ELi2ELi4ELi5ELi6ELi1ELi3ELi7EEEELi7ELi1EEEffSS_SX_S12_S15_S15_S15_NS_13TensorAdaptorINS4_IJNSB_IS6_Lb0EEES1B_NS_23Merge_v2_magic_divisionINS4_IJiiiiEEEEEEEENS4_IJSJ_SL_NSI_IJLi2ELi3ELi4ELi5EEEEEEENS4_IJNSI_IJLi2ELi4EEEENSI_IJLi3ELi5EEEENSI_IJLi6EEEEEEENSI_IJLi0ELi1EEEES1K_EELb0EEEvPKT0_S1Q_PT1_T2_T3_T4_T5_T6_T7_T8_.has_indirect_call, 0
	.section	.AMDGPU.csdata,"",@progbits
; Kernel info:
; codeLenInByte = 4
; TotalNumSgprs: 4
; NumVgprs: 0
; ScratchSize: 0
; MemoryBound: 0
; FloatMode: 240
; IeeeMode: 1
; LDSByteSize: 0 bytes/workgroup (compile time only)
; SGPRBlocks: 0
; VGPRBlocks: 0
; NumSGPRsForWavesPerEU: 4
; NumVGPRsForWavesPerEU: 1
; Occupancy: 10
; WaveLimiterHint : 0
; COMPUTE_PGM_RSRC2:SCRATCH_EN: 0
; COMPUTE_PGM_RSRC2:USER_SGPR: 6
; COMPUTE_PGM_RSRC2:TRAP_HANDLER: 0
; COMPUTE_PGM_RSRC2:TGID_X_EN: 1
; COMPUTE_PGM_RSRC2:TGID_Y_EN: 0
; COMPUTE_PGM_RSRC2:TGID_Z_EN: 0
; COMPUTE_PGM_RSRC2:TIDIG_COMP_CNT: 0
	.section	.AMDGPU.gpr_maximums,"",@progbits
	.set amdgpu.max_num_vgpr, 0
	.set amdgpu.max_num_agpr, 0
	.set amdgpu.max_num_sgpr, 0
	.section	.AMDGPU.csdata,"",@progbits
	.type	__hip_cuid_84ad084b0769c770,@object ; @__hip_cuid_84ad084b0769c770
	.section	.bss,"aw",@nobits
	.globl	__hip_cuid_84ad084b0769c770
__hip_cuid_84ad084b0769c770:
	.byte	0                               ; 0x0
	.size	__hip_cuid_84ad084b0769c770, 1

	.ident	"AMD clang version 22.0.0git (https://github.com/RadeonOpenCompute/llvm-project roc-7.2.4 26084 f58b06dce1f9c15707c5f808fd002e18c2accf7e)"
	.section	".note.GNU-stack","",@progbits
	.addrsig
	.addrsig_sym __hip_cuid_84ad084b0769c770
	.amdgpu_metadata
---
amdhsa.kernels:
  - .args:           []
    .group_segment_fixed_size: 0
    .kernarg_segment_align: 4
    .kernarg_segment_size: 0
    .language:       OpenCL C
    .language_version:
      - 2
      - 0
    .max_flat_workgroup_size: 1024
    .name:           _ZN2ckL12flush_icacheEv
    .private_segment_fixed_size: 0
    .sgpr_count:     4
    .sgpr_spill_count: 0
    .symbol:         _ZN2ckL12flush_icacheEv.kd
    .uniform_work_group_size: 1
    .uses_dynamic_stack: false
    .vgpr_count:     0
    .vgpr_spill_count: 0
    .wavefront_size: 64
  - .args:
      - .actual_access:  read_only
        .address_space:  global
        .offset:         0
        .size:           8
        .value_kind:     global_buffer
      - .actual_access:  read_only
        .address_space:  global
        .offset:         8
        .size:           8
        .value_kind:     global_buffer
      - .actual_access:  read_only
        .address_space:  global
        .offset:         16
        .size:           8
        .value_kind:     global_buffer
      - .offset:         24
        .size:           48
        .value_kind:     by_value
      - .offset:         72
        .size:           48
        .value_kind:     by_value
      - .offset:         120
        .size:           40
        .value_kind:     by_value
      - .offset:         160
        .size:           1
        .value_kind:     by_value
      - .offset:         161
        .size:           1
        .value_kind:     by_value
      - .offset:         162
        .size:           1
        .value_kind:     by_value
      - .offset:         164
        .size:           88
        .value_kind:     by_value
    .group_segment_fixed_size: 0
    .kernarg_segment_align: 8
    .kernarg_segment_size: 252
    .language:       OpenCL C
    .language_version:
      - 2
      - 0
    .max_flat_workgroup_size: 256
    .name:           _ZN2ck32kernel_gemm_xdlops_skip_b_lds_v1INS_48GridwiseGemm_k0mk1_k0nk1_mn_xdlops_skip_b_lds_v1ILi256EfffLNS_25InMemoryDataOperationEnumE0ENS_16TensorDescriptorINS_5TupleIJNS_5EmbedINS4_IJiiEEENS4_IJiNS_17integral_constantIiLi1EEEEEELb0EEENS_7UnMergeINS4_IJiNS7_IiLi4EEEEEELb0EEENS_11PassThroughIiEEEEENS4_IJNS_8SequenceIJLi0EEEENSI_IJLi2EEEENSI_IJLi1EEEEEEENS4_IJNSI_IJLi1ELi2EEEENSI_IJLi3ELi4EEEENSI_IJLi5EEEEEEENSI_IJLi3ELi5ELi4EEEElEENS3_INS4_IJNS5_IS6_NS4_IJS8_iEEELb0EEESE_SG_EEENS4_IJSJ_SL_SK_EEESQ_SR_lEENS3_INS4_IJSA_SG_SG_EEESW_NS4_IJSN_NSI_IJLi3EEEENSI_IJLi4EEEEEEESO_lEENS_16tensor_operation12element_wise11PassThroughES15_S15_Li16ELi128ELi4ELi16ELi16ELi4ELi1ELi2ENSI_IJLi16ELi16ELi1EEEENSI_IJLi1ELi0ELi2EEEES17_Li2ELi4ELi4ELb0ELb1ELi4ELb0ELi4ENSI_IJLi0ELi2ELi4ELi5ELi6ELi1ELi3ELi7EEEELi7ELi1EEEffSS_SX_S12_S15_S15_S15_NS_13TensorAdaptorINS4_IJNSB_IS6_Lb0EEES1B_NS_23Merge_v2_magic_divisionINS4_IJiiiiEEEEEEEENS4_IJSJ_SL_NSI_IJLi2ELi3ELi4ELi5EEEEEEENS4_IJNSI_IJLi2ELi4EEEENSI_IJLi3ELi5EEEENSI_IJLi6EEEEEEENSI_IJLi0ELi1EEEES1K_EELb1EEEvPKT0_S1Q_PT1_T2_T3_T4_T5_T6_T7_T8_
    .private_segment_fixed_size: 0
    .sgpr_count:     4
    .sgpr_spill_count: 0
    .symbol:         _ZN2ck32kernel_gemm_xdlops_skip_b_lds_v1INS_48GridwiseGemm_k0mk1_k0nk1_mn_xdlops_skip_b_lds_v1ILi256EfffLNS_25InMemoryDataOperationEnumE0ENS_16TensorDescriptorINS_5TupleIJNS_5EmbedINS4_IJiiEEENS4_IJiNS_17integral_constantIiLi1EEEEEELb0EEENS_7UnMergeINS4_IJiNS7_IiLi4EEEEEELb0EEENS_11PassThroughIiEEEEENS4_IJNS_8SequenceIJLi0EEEENSI_IJLi2EEEENSI_IJLi1EEEEEEENS4_IJNSI_IJLi1ELi2EEEENSI_IJLi3ELi4EEEENSI_IJLi5EEEEEEENSI_IJLi3ELi5ELi4EEEElEENS3_INS4_IJNS5_IS6_NS4_IJS8_iEEELb0EEESE_SG_EEENS4_IJSJ_SL_SK_EEESQ_SR_lEENS3_INS4_IJSA_SG_SG_EEESW_NS4_IJSN_NSI_IJLi3EEEENSI_IJLi4EEEEEEESO_lEENS_16tensor_operation12element_wise11PassThroughES15_S15_Li16ELi128ELi4ELi16ELi16ELi4ELi1ELi2ENSI_IJLi16ELi16ELi1EEEENSI_IJLi1ELi0ELi2EEEES17_Li2ELi4ELi4ELb0ELb1ELi4ELb0ELi4ENSI_IJLi0ELi2ELi4ELi5ELi6ELi1ELi3ELi7EEEELi7ELi1EEEffSS_SX_S12_S15_S15_S15_NS_13TensorAdaptorINS4_IJNSB_IS6_Lb0EEES1B_NS_23Merge_v2_magic_divisionINS4_IJiiiiEEEEEEEENS4_IJSJ_SL_NSI_IJLi2ELi3ELi4ELi5EEEEEEENS4_IJNSI_IJLi2ELi4EEEENSI_IJLi3ELi5EEEENSI_IJLi6EEEEEEENSI_IJLi0ELi1EEEES1K_EELb1EEEvPKT0_S1Q_PT1_T2_T3_T4_T5_T6_T7_T8_.kd
    .uniform_work_group_size: 1
    .uses_dynamic_stack: false
    .vgpr_count:     0
    .vgpr_spill_count: 0
    .wavefront_size: 64
  - .args:
      - .actual_access:  read_only
        .address_space:  global
        .offset:         0
        .size:           8
        .value_kind:     global_buffer
      - .actual_access:  read_only
        .address_space:  global
        .offset:         8
        .size:           8
        .value_kind:     global_buffer
      - .actual_access:  read_only
        .address_space:  global
        .offset:         16
        .size:           8
        .value_kind:     global_buffer
      - .offset:         24
        .size:           48
        .value_kind:     by_value
      - .offset:         72
        .size:           48
        .value_kind:     by_value
      - .offset:         120
        .size:           40
        .value_kind:     by_value
      - .offset:         160
        .size:           1
        .value_kind:     by_value
      - .offset:         161
        .size:           1
        .value_kind:     by_value
      - .offset:         162
        .size:           1
        .value_kind:     by_value
      - .offset:         164
        .size:           88
        .value_kind:     by_value
    .group_segment_fixed_size: 0
    .kernarg_segment_align: 8
    .kernarg_segment_size: 252
    .language:       OpenCL C
    .language_version:
      - 2
      - 0
    .max_flat_workgroup_size: 256
    .name:           _ZN2ck32kernel_gemm_xdlops_skip_b_lds_v1INS_48GridwiseGemm_k0mk1_k0nk1_mn_xdlops_skip_b_lds_v1ILi256EfffLNS_25InMemoryDataOperationEnumE0ENS_16TensorDescriptorINS_5TupleIJNS_5EmbedINS4_IJiiEEENS4_IJiNS_17integral_constantIiLi1EEEEEELb0EEENS_7UnMergeINS4_IJiNS7_IiLi4EEEEEELb0EEENS_11PassThroughIiEEEEENS4_IJNS_8SequenceIJLi0EEEENSI_IJLi2EEEENSI_IJLi1EEEEEEENS4_IJNSI_IJLi1ELi2EEEENSI_IJLi3ELi4EEEENSI_IJLi5EEEEEEENSI_IJLi3ELi5ELi4EEEElEENS3_INS4_IJNS5_IS6_NS4_IJS8_iEEELb0EEESE_SG_EEENS4_IJSJ_SL_SK_EEESQ_SR_lEENS3_INS4_IJSA_SG_SG_EEESW_NS4_IJSN_NSI_IJLi3EEEENSI_IJLi4EEEEEEESO_lEENS_16tensor_operation12element_wise11PassThroughES15_S15_Li16ELi128ELi4ELi16ELi16ELi4ELi1ELi2ENSI_IJLi16ELi16ELi1EEEENSI_IJLi1ELi0ELi2EEEES17_Li2ELi4ELi4ELb0ELb1ELi4ELb0ELi4ENSI_IJLi0ELi2ELi4ELi5ELi6ELi1ELi3ELi7EEEELi7ELi1EEEffSS_SX_S12_S15_S15_S15_NS_13TensorAdaptorINS4_IJNSB_IS6_Lb0EEES1B_NS_23Merge_v2_magic_divisionINS4_IJiiiiEEEEEEEENS4_IJSJ_SL_NSI_IJLi2ELi3ELi4ELi5EEEEEEENS4_IJNSI_IJLi2ELi4EEEENSI_IJLi3ELi5EEEENSI_IJLi6EEEEEEENSI_IJLi0ELi1EEEES1K_EELb0EEEvPKT0_S1Q_PT1_T2_T3_T4_T5_T6_T7_T8_
    .private_segment_fixed_size: 0
    .sgpr_count:     4
    .sgpr_spill_count: 0
    .symbol:         _ZN2ck32kernel_gemm_xdlops_skip_b_lds_v1INS_48GridwiseGemm_k0mk1_k0nk1_mn_xdlops_skip_b_lds_v1ILi256EfffLNS_25InMemoryDataOperationEnumE0ENS_16TensorDescriptorINS_5TupleIJNS_5EmbedINS4_IJiiEEENS4_IJiNS_17integral_constantIiLi1EEEEEELb0EEENS_7UnMergeINS4_IJiNS7_IiLi4EEEEEELb0EEENS_11PassThroughIiEEEEENS4_IJNS_8SequenceIJLi0EEEENSI_IJLi2EEEENSI_IJLi1EEEEEEENS4_IJNSI_IJLi1ELi2EEEENSI_IJLi3ELi4EEEENSI_IJLi5EEEEEEENSI_IJLi3ELi5ELi4EEEElEENS3_INS4_IJNS5_IS6_NS4_IJS8_iEEELb0EEESE_SG_EEENS4_IJSJ_SL_SK_EEESQ_SR_lEENS3_INS4_IJSA_SG_SG_EEESW_NS4_IJSN_NSI_IJLi3EEEENSI_IJLi4EEEEEEESO_lEENS_16tensor_operation12element_wise11PassThroughES15_S15_Li16ELi128ELi4ELi16ELi16ELi4ELi1ELi2ENSI_IJLi16ELi16ELi1EEEENSI_IJLi1ELi0ELi2EEEES17_Li2ELi4ELi4ELb0ELb1ELi4ELb0ELi4ENSI_IJLi0ELi2ELi4ELi5ELi6ELi1ELi3ELi7EEEELi7ELi1EEEffSS_SX_S12_S15_S15_S15_NS_13TensorAdaptorINS4_IJNSB_IS6_Lb0EEES1B_NS_23Merge_v2_magic_divisionINS4_IJiiiiEEEEEEEENS4_IJSJ_SL_NSI_IJLi2ELi3ELi4ELi5EEEEEEENS4_IJNSI_IJLi2ELi4EEEENSI_IJLi3ELi5EEEENSI_IJLi6EEEEEEENSI_IJLi0ELi1EEEES1K_EELb0EEEvPKT0_S1Q_PT1_T2_T3_T4_T5_T6_T7_T8_.kd
    .uniform_work_group_size: 1
    .uses_dynamic_stack: false
    .vgpr_count:     0
    .vgpr_spill_count: 0
    .wavefront_size: 64
  - .args:
      - .actual_access:  read_only
        .address_space:  global
        .offset:         0
        .size:           8
        .value_kind:     global_buffer
      - .actual_access:  read_only
        .address_space:  global
        .offset:         8
        .size:           8
        .value_kind:     global_buffer
      - .actual_access:  read_only
        .address_space:  global
        .offset:         16
        .size:           8
        .value_kind:     global_buffer
      - .offset:         24
        .size:           48
        .value_kind:     by_value
      - .offset:         72
        .size:           48
        .value_kind:     by_value
      - .offset:         120
        .size:           40
        .value_kind:     by_value
      - .offset:         160
        .size:           1
        .value_kind:     by_value
      - .offset:         161
        .size:           1
        .value_kind:     by_value
      - .offset:         162
        .size:           1
        .value_kind:     by_value
      - .offset:         164
        .size:           88
        .value_kind:     by_value
    .group_segment_fixed_size: 0
    .kernarg_segment_align: 8
    .kernarg_segment_size: 252
    .language:       OpenCL C
    .language_version:
      - 2
      - 0
    .max_flat_workgroup_size: 256
    .name:           _ZN2ck32kernel_gemm_xdlops_skip_b_lds_v1INS_48GridwiseGemm_k0mk1_k0nk1_mn_xdlops_skip_b_lds_v1ILi256EfffLNS_25InMemoryDataOperationEnumE0ENS_16TensorDescriptorINS_5TupleIJNS_5EmbedINS4_IJiiEEENS4_IJiNS_17integral_constantIiLi1EEEEEELb0EEENS_7UnMergeINS4_IJiNS7_IiLi4EEEEEELb0EEENS_11PassThroughIiEEEEENS4_IJNS_8SequenceIJLi0EEEENSI_IJLi2EEEENSI_IJLi1EEEEEEENS4_IJNSI_IJLi1ELi2EEEENSI_IJLi3ELi4EEEENSI_IJLi5EEEEEEENSI_IJLi3ELi5ELi4EEEElEENS3_INS4_IJNS5_IS6_NS4_IJS8_iEEELb0EEESE_SG_EEENS4_IJSJ_SL_SK_EEESQ_SR_lEENS3_INS4_IJSA_SG_SG_EEESW_NS4_IJSN_NSI_IJLi3EEEENSI_IJLi4EEEEEEESO_lEENS_16tensor_operation12element_wise11PassThroughES15_S15_Li16ELi128ELi4ELi16ELi16ELi4ELi1ELi1ENSI_IJLi16ELi16ELi1EEEENSI_IJLi1ELi0ELi2EEEES17_Li2ELi4ELi4ELb0ELb1ELi4ELb0ELi4ENSI_IJLi0ELi2ELi4ELi5ELi6ELi1ELi3ELi7EEEELi7ELi1EEEffSS_SX_S12_S15_S15_S15_NS_13TensorAdaptorINS4_IJNSB_IS6_Lb0EEES1B_NS_23Merge_v2_magic_divisionINS4_IJiiiiEEEEEEEENS4_IJSJ_SL_NSI_IJLi2ELi3ELi4ELi5EEEEEEENS4_IJNSI_IJLi2ELi4EEEENSI_IJLi3ELi5EEEENSI_IJLi6EEEEEEENSI_IJLi0ELi1EEEES1K_EELb1EEEvPKT0_S1Q_PT1_T2_T3_T4_T5_T6_T7_T8_
    .private_segment_fixed_size: 0
    .sgpr_count:     4
    .sgpr_spill_count: 0
    .symbol:         _ZN2ck32kernel_gemm_xdlops_skip_b_lds_v1INS_48GridwiseGemm_k0mk1_k0nk1_mn_xdlops_skip_b_lds_v1ILi256EfffLNS_25InMemoryDataOperationEnumE0ENS_16TensorDescriptorINS_5TupleIJNS_5EmbedINS4_IJiiEEENS4_IJiNS_17integral_constantIiLi1EEEEEELb0EEENS_7UnMergeINS4_IJiNS7_IiLi4EEEEEELb0EEENS_11PassThroughIiEEEEENS4_IJNS_8SequenceIJLi0EEEENSI_IJLi2EEEENSI_IJLi1EEEEEEENS4_IJNSI_IJLi1ELi2EEEENSI_IJLi3ELi4EEEENSI_IJLi5EEEEEEENSI_IJLi3ELi5ELi4EEEElEENS3_INS4_IJNS5_IS6_NS4_IJS8_iEEELb0EEESE_SG_EEENS4_IJSJ_SL_SK_EEESQ_SR_lEENS3_INS4_IJSA_SG_SG_EEESW_NS4_IJSN_NSI_IJLi3EEEENSI_IJLi4EEEEEEESO_lEENS_16tensor_operation12element_wise11PassThroughES15_S15_Li16ELi128ELi4ELi16ELi16ELi4ELi1ELi1ENSI_IJLi16ELi16ELi1EEEENSI_IJLi1ELi0ELi2EEEES17_Li2ELi4ELi4ELb0ELb1ELi4ELb0ELi4ENSI_IJLi0ELi2ELi4ELi5ELi6ELi1ELi3ELi7EEEELi7ELi1EEEffSS_SX_S12_S15_S15_S15_NS_13TensorAdaptorINS4_IJNSB_IS6_Lb0EEES1B_NS_23Merge_v2_magic_divisionINS4_IJiiiiEEEEEEEENS4_IJSJ_SL_NSI_IJLi2ELi3ELi4ELi5EEEEEEENS4_IJNSI_IJLi2ELi4EEEENSI_IJLi3ELi5EEEENSI_IJLi6EEEEEEENSI_IJLi0ELi1EEEES1K_EELb1EEEvPKT0_S1Q_PT1_T2_T3_T4_T5_T6_T7_T8_.kd
    .uniform_work_group_size: 1
    .uses_dynamic_stack: false
    .vgpr_count:     0
    .vgpr_spill_count: 0
    .wavefront_size: 64
  - .args:
      - .actual_access:  read_only
        .address_space:  global
        .offset:         0
        .size:           8
        .value_kind:     global_buffer
      - .actual_access:  read_only
        .address_space:  global
        .offset:         8
        .size:           8
        .value_kind:     global_buffer
      - .actual_access:  read_only
        .address_space:  global
        .offset:         16
        .size:           8
        .value_kind:     global_buffer
      - .offset:         24
        .size:           48
        .value_kind:     by_value
      - .offset:         72
        .size:           48
        .value_kind:     by_value
      - .offset:         120
        .size:           40
        .value_kind:     by_value
      - .offset:         160
        .size:           1
        .value_kind:     by_value
      - .offset:         161
        .size:           1
        .value_kind:     by_value
      - .offset:         162
        .size:           1
        .value_kind:     by_value
      - .offset:         164
        .size:           88
        .value_kind:     by_value
    .group_segment_fixed_size: 0
    .kernarg_segment_align: 8
    .kernarg_segment_size: 252
    .language:       OpenCL C
    .language_version:
      - 2
      - 0
    .max_flat_workgroup_size: 256
    .name:           _ZN2ck32kernel_gemm_xdlops_skip_b_lds_v1INS_48GridwiseGemm_k0mk1_k0nk1_mn_xdlops_skip_b_lds_v1ILi256EfffLNS_25InMemoryDataOperationEnumE0ENS_16TensorDescriptorINS_5TupleIJNS_5EmbedINS4_IJiiEEENS4_IJiNS_17integral_constantIiLi1EEEEEELb0EEENS_7UnMergeINS4_IJiNS7_IiLi4EEEEEELb0EEENS_11PassThroughIiEEEEENS4_IJNS_8SequenceIJLi0EEEENSI_IJLi2EEEENSI_IJLi1EEEEEEENS4_IJNSI_IJLi1ELi2EEEENSI_IJLi3ELi4EEEENSI_IJLi5EEEEEEENSI_IJLi3ELi5ELi4EEEElEENS3_INS4_IJNS5_IS6_NS4_IJS8_iEEELb0EEESE_SG_EEENS4_IJSJ_SL_SK_EEESQ_SR_lEENS3_INS4_IJSA_SG_SG_EEESW_NS4_IJSN_NSI_IJLi3EEEENSI_IJLi4EEEEEEESO_lEENS_16tensor_operation12element_wise11PassThroughES15_S15_Li16ELi128ELi4ELi16ELi16ELi4ELi1ELi1ENSI_IJLi16ELi16ELi1EEEENSI_IJLi1ELi0ELi2EEEES17_Li2ELi4ELi4ELb0ELb1ELi4ELb0ELi4ENSI_IJLi0ELi2ELi4ELi5ELi6ELi1ELi3ELi7EEEELi7ELi1EEEffSS_SX_S12_S15_S15_S15_NS_13TensorAdaptorINS4_IJNSB_IS6_Lb0EEES1B_NS_23Merge_v2_magic_divisionINS4_IJiiiiEEEEEEEENS4_IJSJ_SL_NSI_IJLi2ELi3ELi4ELi5EEEEEEENS4_IJNSI_IJLi2ELi4EEEENSI_IJLi3ELi5EEEENSI_IJLi6EEEEEEENSI_IJLi0ELi1EEEES1K_EELb0EEEvPKT0_S1Q_PT1_T2_T3_T4_T5_T6_T7_T8_
    .private_segment_fixed_size: 0
    .sgpr_count:     4
    .sgpr_spill_count: 0
    .symbol:         _ZN2ck32kernel_gemm_xdlops_skip_b_lds_v1INS_48GridwiseGemm_k0mk1_k0nk1_mn_xdlops_skip_b_lds_v1ILi256EfffLNS_25InMemoryDataOperationEnumE0ENS_16TensorDescriptorINS_5TupleIJNS_5EmbedINS4_IJiiEEENS4_IJiNS_17integral_constantIiLi1EEEEEELb0EEENS_7UnMergeINS4_IJiNS7_IiLi4EEEEEELb0EEENS_11PassThroughIiEEEEENS4_IJNS_8SequenceIJLi0EEEENSI_IJLi2EEEENSI_IJLi1EEEEEEENS4_IJNSI_IJLi1ELi2EEEENSI_IJLi3ELi4EEEENSI_IJLi5EEEEEEENSI_IJLi3ELi5ELi4EEEElEENS3_INS4_IJNS5_IS6_NS4_IJS8_iEEELb0EEESE_SG_EEENS4_IJSJ_SL_SK_EEESQ_SR_lEENS3_INS4_IJSA_SG_SG_EEESW_NS4_IJSN_NSI_IJLi3EEEENSI_IJLi4EEEEEEESO_lEENS_16tensor_operation12element_wise11PassThroughES15_S15_Li16ELi128ELi4ELi16ELi16ELi4ELi1ELi1ENSI_IJLi16ELi16ELi1EEEENSI_IJLi1ELi0ELi2EEEES17_Li2ELi4ELi4ELb0ELb1ELi4ELb0ELi4ENSI_IJLi0ELi2ELi4ELi5ELi6ELi1ELi3ELi7EEEELi7ELi1EEEffSS_SX_S12_S15_S15_S15_NS_13TensorAdaptorINS4_IJNSB_IS6_Lb0EEES1B_NS_23Merge_v2_magic_divisionINS4_IJiiiiEEEEEEEENS4_IJSJ_SL_NSI_IJLi2ELi3ELi4ELi5EEEEEEENS4_IJNSI_IJLi2ELi4EEEENSI_IJLi3ELi5EEEENSI_IJLi6EEEEEEENSI_IJLi0ELi1EEEES1K_EELb0EEEvPKT0_S1Q_PT1_T2_T3_T4_T5_T6_T7_T8_.kd
    .uniform_work_group_size: 1
    .uses_dynamic_stack: false
    .vgpr_count:     0
    .vgpr_spill_count: 0
    .wavefront_size: 64
amdhsa.target:   amdgcn-amd-amdhsa--gfx906
amdhsa.version:
  - 1
  - 2
...

	.end_amdgpu_metadata
